;; amdgpu-corpus repo=ROCm/rocFFT kind=compiled arch=gfx1030 opt=O3
	.text
	.amdgcn_target "amdgcn-amd-amdhsa--gfx1030"
	.amdhsa_code_object_version 6
	.protected	fft_rtc_fwd_len578_factors_17_17_2_wgs_238_tpt_34_halfLds_dp_ip_CI_unitstride_sbrr_dirReg ; -- Begin function fft_rtc_fwd_len578_factors_17_17_2_wgs_238_tpt_34_halfLds_dp_ip_CI_unitstride_sbrr_dirReg
	.globl	fft_rtc_fwd_len578_factors_17_17_2_wgs_238_tpt_34_halfLds_dp_ip_CI_unitstride_sbrr_dirReg
	.p2align	8
	.type	fft_rtc_fwd_len578_factors_17_17_2_wgs_238_tpt_34_halfLds_dp_ip_CI_unitstride_sbrr_dirReg,@function
fft_rtc_fwd_len578_factors_17_17_2_wgs_238_tpt_34_halfLds_dp_ip_CI_unitstride_sbrr_dirReg: ; @fft_rtc_fwd_len578_factors_17_17_2_wgs_238_tpt_34_halfLds_dp_ip_CI_unitstride_sbrr_dirReg
; %bb.0:
	s_load_dwordx4 s[8:11], s[4:5], 0x0
	v_mul_u32_u24_e32 v1, 0x788, v0
	s_clause 0x1
	s_load_dwordx2 s[2:3], s[4:5], 0x50
	s_load_dwordx2 s[12:13], s[4:5], 0x18
	v_lshrrev_b32_e32 v2, 16, v1
	v_mov_b32_e32 v1, 0
	v_mad_u64_u32 v[72:73], null, s6, 7, v[2:3]
	v_mov_b32_e32 v73, v1
	v_mov_b32_e32 v3, 0
	;; [unrolled: 1-line block ×4, first 2 shown]
	s_waitcnt lgkmcnt(0)
	v_cmp_lt_u64_e64 s0, s[10:11], 2
	v_mov_b32_e32 v8, v73
	s_and_b32 vcc_lo, exec_lo, s0
	s_cbranch_vccnz .LBB0_8
; %bb.1:
	s_load_dwordx2 s[0:1], s[4:5], 0x10
	v_mov_b32_e32 v3, 0
	v_mov_b32_e32 v5, v72
	s_add_u32 s6, s12, 8
	v_mov_b32_e32 v4, 0
	v_mov_b32_e32 v6, v73
	s_addc_u32 s7, s13, 0
	s_mov_b64 s[16:17], 1
	s_waitcnt lgkmcnt(0)
	s_add_u32 s14, s0, 8
	s_addc_u32 s15, s1, 0
.LBB0_2:                                ; =>This Inner Loop Header: Depth=1
	s_load_dwordx2 s[18:19], s[14:15], 0x0
                                        ; implicit-def: $vgpr7_vgpr8
	s_mov_b32 s0, exec_lo
	s_waitcnt lgkmcnt(0)
	v_or_b32_e32 v2, s19, v6
	v_cmpx_ne_u64_e32 0, v[1:2]
	s_xor_b32 s1, exec_lo, s0
	s_cbranch_execz .LBB0_4
; %bb.3:                                ;   in Loop: Header=BB0_2 Depth=1
	v_cvt_f32_u32_e32 v2, s18
	v_cvt_f32_u32_e32 v7, s19
	s_sub_u32 s0, 0, s18
	s_subb_u32 s20, 0, s19
	v_fmac_f32_e32 v2, 0x4f800000, v7
	v_rcp_f32_e32 v2, v2
	v_mul_f32_e32 v2, 0x5f7ffffc, v2
	v_mul_f32_e32 v7, 0x2f800000, v2
	v_trunc_f32_e32 v7, v7
	v_fmac_f32_e32 v2, 0xcf800000, v7
	v_cvt_u32_f32_e32 v7, v7
	v_cvt_u32_f32_e32 v2, v2
	v_mul_lo_u32 v8, s0, v7
	v_mul_hi_u32 v9, s0, v2
	v_mul_lo_u32 v10, s20, v2
	v_add_nc_u32_e32 v8, v9, v8
	v_mul_lo_u32 v9, s0, v2
	v_add_nc_u32_e32 v8, v8, v10
	v_mul_hi_u32 v10, v2, v9
	v_mul_lo_u32 v11, v2, v8
	v_mul_hi_u32 v12, v2, v8
	v_mul_hi_u32 v13, v7, v9
	v_mul_lo_u32 v9, v7, v9
	v_mul_hi_u32 v14, v7, v8
	v_mul_lo_u32 v8, v7, v8
	v_add_co_u32 v10, vcc_lo, v10, v11
	v_add_co_ci_u32_e32 v11, vcc_lo, 0, v12, vcc_lo
	v_add_co_u32 v9, vcc_lo, v10, v9
	v_add_co_ci_u32_e32 v9, vcc_lo, v11, v13, vcc_lo
	v_add_co_ci_u32_e32 v10, vcc_lo, 0, v14, vcc_lo
	v_add_co_u32 v8, vcc_lo, v9, v8
	v_add_co_ci_u32_e32 v9, vcc_lo, 0, v10, vcc_lo
	v_add_co_u32 v2, vcc_lo, v2, v8
	v_add_co_ci_u32_e32 v7, vcc_lo, v7, v9, vcc_lo
	v_mul_hi_u32 v8, s0, v2
	v_mul_lo_u32 v10, s20, v2
	v_mul_lo_u32 v9, s0, v7
	v_add_nc_u32_e32 v8, v8, v9
	v_mul_lo_u32 v9, s0, v2
	v_add_nc_u32_e32 v8, v8, v10
	v_mul_hi_u32 v10, v2, v9
	v_mul_lo_u32 v11, v2, v8
	v_mul_hi_u32 v12, v2, v8
	v_mul_hi_u32 v13, v7, v9
	v_mul_lo_u32 v9, v7, v9
	v_mul_hi_u32 v14, v7, v8
	v_mul_lo_u32 v8, v7, v8
	v_add_co_u32 v10, vcc_lo, v10, v11
	v_add_co_ci_u32_e32 v11, vcc_lo, 0, v12, vcc_lo
	v_add_co_u32 v9, vcc_lo, v10, v9
	v_add_co_ci_u32_e32 v9, vcc_lo, v11, v13, vcc_lo
	v_add_co_ci_u32_e32 v10, vcc_lo, 0, v14, vcc_lo
	v_add_co_u32 v8, vcc_lo, v9, v8
	v_add_co_ci_u32_e32 v9, vcc_lo, 0, v10, vcc_lo
	v_add_co_u32 v2, vcc_lo, v2, v8
	v_add_co_ci_u32_e32 v11, vcc_lo, v7, v9, vcc_lo
	v_mul_hi_u32 v13, v5, v2
	v_mad_u64_u32 v[9:10], null, v6, v2, 0
	v_mad_u64_u32 v[7:8], null, v5, v11, 0
	v_mad_u64_u32 v[11:12], null, v6, v11, 0
	v_add_co_u32 v2, vcc_lo, v13, v7
	v_add_co_ci_u32_e32 v7, vcc_lo, 0, v8, vcc_lo
	v_add_co_u32 v2, vcc_lo, v2, v9
	v_add_co_ci_u32_e32 v2, vcc_lo, v7, v10, vcc_lo
	v_add_co_ci_u32_e32 v7, vcc_lo, 0, v12, vcc_lo
	v_add_co_u32 v2, vcc_lo, v2, v11
	v_add_co_ci_u32_e32 v9, vcc_lo, 0, v7, vcc_lo
	v_mul_lo_u32 v10, s19, v2
	v_mad_u64_u32 v[7:8], null, s18, v2, 0
	v_mul_lo_u32 v11, s18, v9
	v_sub_co_u32 v7, vcc_lo, v5, v7
	v_add3_u32 v8, v8, v11, v10
	v_sub_nc_u32_e32 v10, v6, v8
	v_subrev_co_ci_u32_e64 v10, s0, s19, v10, vcc_lo
	v_add_co_u32 v11, s0, v2, 2
	v_add_co_ci_u32_e64 v12, s0, 0, v9, s0
	v_sub_co_u32 v13, s0, v7, s18
	v_sub_co_ci_u32_e32 v8, vcc_lo, v6, v8, vcc_lo
	v_subrev_co_ci_u32_e64 v10, s0, 0, v10, s0
	v_cmp_le_u32_e32 vcc_lo, s18, v13
	v_cmp_eq_u32_e64 s0, s19, v8
	v_cndmask_b32_e64 v13, 0, -1, vcc_lo
	v_cmp_le_u32_e32 vcc_lo, s19, v10
	v_cndmask_b32_e64 v14, 0, -1, vcc_lo
	v_cmp_le_u32_e32 vcc_lo, s18, v7
	;; [unrolled: 2-line block ×3, first 2 shown]
	v_cndmask_b32_e64 v15, 0, -1, vcc_lo
	v_cmp_eq_u32_e32 vcc_lo, s19, v10
	v_cndmask_b32_e64 v7, v15, v7, s0
	v_cndmask_b32_e32 v10, v14, v13, vcc_lo
	v_add_co_u32 v13, vcc_lo, v2, 1
	v_add_co_ci_u32_e32 v14, vcc_lo, 0, v9, vcc_lo
	v_cmp_ne_u32_e32 vcc_lo, 0, v10
	v_cndmask_b32_e32 v8, v14, v12, vcc_lo
	v_cndmask_b32_e32 v10, v13, v11, vcc_lo
	v_cmp_ne_u32_e32 vcc_lo, 0, v7
	v_cndmask_b32_e32 v8, v9, v8, vcc_lo
	v_cndmask_b32_e32 v7, v2, v10, vcc_lo
.LBB0_4:                                ;   in Loop: Header=BB0_2 Depth=1
	s_andn2_saveexec_b32 s0, s1
	s_cbranch_execz .LBB0_6
; %bb.5:                                ;   in Loop: Header=BB0_2 Depth=1
	v_cvt_f32_u32_e32 v2, s18
	s_sub_i32 s1, 0, s18
	v_rcp_iflag_f32_e32 v2, v2
	v_mul_f32_e32 v2, 0x4f7ffffe, v2
	v_cvt_u32_f32_e32 v2, v2
	v_mul_lo_u32 v7, s1, v2
	v_mul_hi_u32 v7, v2, v7
	v_add_nc_u32_e32 v2, v2, v7
	v_mul_hi_u32 v2, v5, v2
	v_mul_lo_u32 v7, v2, s18
	v_add_nc_u32_e32 v8, 1, v2
	v_sub_nc_u32_e32 v7, v5, v7
	v_subrev_nc_u32_e32 v9, s18, v7
	v_cmp_le_u32_e32 vcc_lo, s18, v7
	v_cndmask_b32_e32 v7, v7, v9, vcc_lo
	v_cndmask_b32_e32 v2, v2, v8, vcc_lo
	v_cmp_le_u32_e32 vcc_lo, s18, v7
	v_add_nc_u32_e32 v8, 1, v2
	v_cndmask_b32_e32 v7, v2, v8, vcc_lo
	v_mov_b32_e32 v8, v1
.LBB0_6:                                ;   in Loop: Header=BB0_2 Depth=1
	s_or_b32 exec_lo, exec_lo, s0
	s_load_dwordx2 s[0:1], s[6:7], 0x0
	v_mul_lo_u32 v2, v8, s18
	v_mul_lo_u32 v11, v7, s19
	v_mad_u64_u32 v[9:10], null, v7, s18, 0
	s_add_u32 s16, s16, 1
	s_addc_u32 s17, s17, 0
	s_add_u32 s6, s6, 8
	s_addc_u32 s7, s7, 0
	;; [unrolled: 2-line block ×3, first 2 shown]
	v_add3_u32 v2, v10, v11, v2
	v_sub_co_u32 v5, vcc_lo, v5, v9
	v_sub_co_ci_u32_e32 v2, vcc_lo, v6, v2, vcc_lo
	s_waitcnt lgkmcnt(0)
	v_mul_lo_u32 v6, s1, v5
	v_mul_lo_u32 v2, s0, v2
	v_mad_u64_u32 v[3:4], null, s0, v5, v[3:4]
	v_cmp_ge_u64_e64 s0, s[16:17], s[10:11]
	s_and_b32 vcc_lo, exec_lo, s0
	v_add3_u32 v4, v6, v4, v2
	s_cbranch_vccnz .LBB0_8
; %bb.7:                                ;   in Loop: Header=BB0_2 Depth=1
	v_mov_b32_e32 v5, v7
	v_mov_b32_e32 v6, v8
	s_branch .LBB0_2
.LBB0_8:
	s_lshl_b64 s[0:1], s[10:11], 3
                                        ; implicit-def: $vgpr10_vgpr11
                                        ; implicit-def: $vgpr14_vgpr15
                                        ; implicit-def: $vgpr18_vgpr19
                                        ; implicit-def: $vgpr34_vgpr35
                                        ; implicit-def: $vgpr22_vgpr23
                                        ; implicit-def: $vgpr26_vgpr27
                                        ; implicit-def: $vgpr30_vgpr31
                                        ; implicit-def: $vgpr38_vgpr39
                                        ; implicit-def: $vgpr42_vgpr43
                                        ; implicit-def: $vgpr50_vgpr51
                                        ; implicit-def: $vgpr54_vgpr55
                                        ; implicit-def: $vgpr66_vgpr67
                                        ; implicit-def: $vgpr58_vgpr59
                                        ; implicit-def: $vgpr46_vgpr47
                                        ; implicit-def: $vgpr62_vgpr63
	s_add_u32 s0, s12, s0
	s_addc_u32 s1, s13, s1
	s_load_dwordx2 s[0:1], s[0:1], 0x0
	s_load_dwordx2 s[4:5], s[4:5], 0x20
	s_waitcnt lgkmcnt(0)
	v_mul_lo_u32 v5, s0, v8
	v_mul_lo_u32 v6, s1, v7
	v_mad_u64_u32 v[1:2], null, s0, v7, v[3:4]
	v_mul_hi_u32 v3, 0x7878788, v0
	v_cmp_gt_u64_e32 vcc_lo, s[4:5], v[7:8]
	v_add3_u32 v2, v6, v2, v5
                                        ; implicit-def: $vgpr6_vgpr7
	v_mul_u32_u24_e32 v3, 34, v3
	v_lshlrev_b64 v[68:69], 4, v[1:2]
	v_sub_nc_u32_e32 v70, v0, v3
                                        ; implicit-def: $vgpr2_vgpr3
	s_and_saveexec_b32 s1, vcc_lo
	s_cbranch_execz .LBB0_10
; %bb.9:
	v_mov_b32_e32 v71, 0
	v_add_co_u32 v2, s0, s2, v68
	v_add_co_ci_u32_e64 v3, s0, s3, v69, s0
	v_lshlrev_b64 v[0:1], 4, v[70:71]
	v_add_co_u32 v4, s0, v2, v0
	v_add_co_ci_u32_e64 v5, s0, v3, v1, s0
	s_clause 0x3
	global_load_dwordx4 v[0:3], v[4:5], off
	global_load_dwordx4 v[60:63], v[4:5], off offset:544
	global_load_dwordx4 v[44:47], v[4:5], off offset:1088
	;; [unrolled: 1-line block ×3, first 2 shown]
	v_add_co_u32 v6, s0, 0x800, v4
	v_add_co_ci_u32_e64 v7, s0, 0, v5, s0
	v_add_co_u32 v8, s0, 0x1000, v4
	v_add_co_ci_u32_e64 v9, s0, 0, v5, s0
	s_clause 0x7
	global_load_dwordx4 v[64:67], v[6:7], off offset:128
	global_load_dwordx4 v[52:55], v[6:7], off offset:672
	;; [unrolled: 1-line block ×8, first 2 shown]
	v_add_co_u32 v6, s0, 0x1800, v4
	v_add_co_ci_u32_e64 v7, s0, 0, v5, s0
	v_add_co_u32 v4, s0, 0x2000, v4
	v_add_co_ci_u32_e64 v5, s0, 0, v5, s0
	s_clause 0x4
	global_load_dwordx4 v[32:35], v[6:7], off offset:384
	global_load_dwordx4 v[16:19], v[6:7], off offset:928
	;; [unrolled: 1-line block ×5, first 2 shown]
.LBB0_10:
	s_or_b32 exec_lo, exec_lo, s1
	s_waitcnt vmcnt(15)
	v_add_f64 v[105:106], v[60:61], v[0:1]
	v_add_f64 v[107:108], v[62:63], v[2:3]
	s_waitcnt vmcnt(0)
	v_add_f64 v[123:124], v[4:5], v[60:61]
	v_add_f64 v[125:126], v[60:61], -v[4:5]
	v_add_f64 v[111:112], v[62:63], -v[6:7]
	v_add_f64 v[115:116], v[16:17], v[64:65]
	v_add_f64 v[89:90], v[18:19], v[66:67]
	v_add_f64 v[91:92], v[64:65], -v[16:17]
	v_add_f64 v[113:114], v[32:33], v[52:53]
	v_add_f64 v[85:86], v[34:35], v[54:55]
	v_add_f64 v[87:88], v[52:53], -v[32:33]
	v_add_f64 v[103:104], v[54:55], -v[34:35]
	s_mov_b32 s10, 0x2b2883cd
	s_mov_b32 s11, 0x3fdc86fa
	v_add_f64 v[101:102], v[24:25], v[40:41]
	v_add_f64 v[77:78], v[26:27], v[42:43]
	v_add_f64 v[79:80], v[40:41], -v[24:25]
	v_add_f64 v[95:96], v[42:43], -v[26:27]
	v_add_f64 v[127:128], v[8:9], v[44:45]
	v_mul_hi_u32 v71, 0x24924925, v72
	s_mov_b32 s14, 0x370991
	s_mov_b32 s36, 0x5d8e7cdc
	v_add_f64 v[117:118], v[44:45], v[105:106]
	v_add_f64 v[119:120], v[46:47], v[107:108]
	;; [unrolled: 1-line block ×3, first 2 shown]
	v_add_f64 v[105:106], v[66:67], -v[18:19]
	v_mul_f64 v[133:134], v[123:124], s[10:11]
	s_mov_b32 s12, 0x75d4884
	s_mov_b32 s30, 0x2a9d6da3
	;; [unrolled: 1-line block ×17, first 2 shown]
	v_add_f64 v[60:61], v[56:57], v[117:118]
	v_add_f64 v[62:63], v[58:59], v[119:120]
	v_sub_nc_u32_e32 v117, v72, v71
	s_mov_b32 s31, 0x3fe58eea
	s_mov_b32 s47, 0xbfe58eea
	;; [unrolled: 1-line block ×4, first 2 shown]
	v_lshrrev_b32_e32 v117, 1, v117
	s_mov_b32 s5, 0x3fb79ee6
	s_mov_b32 s21, 0x3fefdd0d
	;; [unrolled: 1-line block ×14, first 2 shown]
	v_add_f64 v[64:65], v[64:65], v[60:61]
	v_add_f64 v[66:67], v[66:67], v[62:63]
	s_mov_b32 s29, 0xbfc7851a
	s_mov_b32 s40, s36
	;; [unrolled: 1-line block ×9, first 2 shown]
	v_add_f64 v[97:98], v[28:29], v[36:37]
	v_add_f64 v[73:74], v[30:31], v[38:39]
	v_add_f64 v[75:76], v[36:37], -v[28:29]
	v_add_f64 v[93:94], v[38:39], -v[30:31]
	v_add_f64 v[109:110], v[20:21], v[48:49]
	v_add_f64 v[83:84], v[48:49], -v[20:21]
	v_add_f64 v[121:122], v[12:13], v[56:57]
	v_add_f64 v[62:63], v[46:47], -v[10:11]
	v_add_nc_u32_e32 v71, v117, v71
	v_mul_f64 v[129:130], v[123:124], s[14:15]
	v_mul_f64 v[131:132], v[123:124], s[12:13]
	v_add_f64 v[52:53], v[52:53], v[64:65]
	v_add_f64 v[54:55], v[54:55], v[66:67]
	v_mul_f64 v[135:136], v[123:124], s[4:5]
	v_mul_f64 v[137:138], v[123:124], s[16:17]
	;; [unrolled: 1-line block ×18, first 2 shown]
	v_add_f64 v[60:61], v[14:15], v[58:59]
	v_add_f64 v[58:59], v[58:59], -v[14:15]
	v_add_f64 v[159:160], v[48:49], v[52:53]
	v_add_f64 v[161:162], v[50:51], v[54:55]
	v_mul_f64 v[48:49], v[125:126], s[28:29]
	v_mul_f64 v[125:126], v[127:128], s[6:7]
	v_mul_f64 v[52:53], v[121:122], s[6:7]
	v_fma_f64 v[197:198], v[111:112], s[30:31], v[131:132]
	v_fma_f64 v[217:218], v[111:112], s[36:37], v[129:130]
	;; [unrolled: 1-line block ×3, first 2 shown]
	v_lshrrev_b32_e32 v71, 2, v71
	v_mul_f64 v[64:65], v[121:122], s[16:17]
	v_mul_f64 v[66:67], v[121:122], s[10:11]
	;; [unrolled: 1-line block ×3, first 2 shown]
	v_fma_f64 v[221:222], v[111:112], s[48:49], v[137:138]
	v_mul_lo_u32 v71, v71, 7
	v_fma_f64 v[223:224], v[62:63], s[20:21], v[119:120]
	v_fma_f64 v[225:226], v[111:112], s[52:53], v[141:142]
	v_add_f64 v[81:82], v[22:23], v[50:51]
	v_fma_f64 v[229:230], v[62:63], s[30:31], v[123:124]
	v_add_f64 v[99:100], v[50:51], -v[22:23]
	v_mul_f64 v[50:51], v[121:122], s[18:19]
	v_mul_f64 v[54:55], v[121:122], s[12:13]
	v_sub_nc_u32_e32 v249, v72, v71
	v_add_f64 v[40:41], v[40:41], v[159:160]
	v_add_f64 v[42:43], v[42:43], v[161:162]
	v_fma_f64 v[71:72], v[111:112], s[40:41], v[129:130]
	v_fma_f64 v[129:130], v[111:112], s[46:47], v[131:132]
	;; [unrolled: 1-line block ×3, first 2 shown]
	v_add_f64 v[197:198], v[0:1], v[197:198]
	v_add_f64 v[217:218], v[0:1], v[217:218]
	;; [unrolled: 1-line block ×3, first 2 shown]
	v_fma_f64 v[237:238], v[58:59], s[28:29], v[52:53]
	v_mul_f64 v[175:176], v[121:122], s[4:5]
	v_mul_f64 v[177:178], v[115:116], s[14:15]
	v_mul_f64 v[181:182], v[115:116], s[4:5]
	v_mul_f64 v[185:186], v[113:114], s[12:13]
	v_fma_f64 v[227:228], v[62:63], s[38:39], v[163:164]
	v_add_f64 v[221:222], v[0:1], v[221:222]
	v_fma_f64 v[233:234], v[62:63], s[26:27], v[165:166]
	v_fma_f64 v[235:236], v[62:63], s[50:51], v[167:168]
	v_add_f64 v[225:226], v[0:1], v[225:226]
	v_fma_f64 v[243:244], v[105:106], s[26:27], v[173:174]
	v_mul_f64 v[169:170], v[121:122], s[14:15]
	v_fma_f64 v[231:232], v[58:59], s[44:45], v[50:51]
	v_mul_f64 v[171:172], v[115:116], s[6:7]
	v_add_f64 v[36:37], v[36:37], v[40:41]
	v_add_f64 v[38:39], v[38:39], v[42:43]
	v_mul_f64 v[42:43], v[127:128], s[14:15]
	v_fma_f64 v[127:128], v[111:112], s[24:25], v[133:134]
	v_fma_f64 v[133:134], v[111:112], s[42:43], v[135:136]
	;; [unrolled: 1-line block ×4, first 2 shown]
	v_add_f64 v[197:198], v[223:224], v[197:198]
	v_fma_f64 v[223:224], v[111:112], s[54:55], v[143:144]
	v_add_f64 v[217:218], v[229:230], v[217:218]
	v_mul_f64 v[161:162], v[115:116], s[18:19]
	v_mul_f64 v[201:202], v[109:110], s[14:15]
	;; [unrolled: 1-line block ×3, first 2 shown]
	v_fma_f64 v[139:140], v[111:112], s[34:35], v[139:140]
	v_fma_f64 v[141:142], v[111:112], s[38:39], v[141:142]
	;; [unrolled: 1-line block ×4, first 2 shown]
	v_add_f64 v[225:226], v[235:236], v[225:226]
	v_mul_f64 v[159:160], v[115:116], s[22:23]
	v_mul_f64 v[179:180], v[115:116], s[10:11]
	;; [unrolled: 1-line block ×4, first 2 shown]
	v_add_f64 v[28:29], v[28:29], v[36:37]
	v_add_f64 v[30:31], v[30:31], v[38:39]
	v_fma_f64 v[36:37], v[62:63], s[44:45], v[117:118]
	v_add_f64 v[127:128], v[0:1], v[127:128]
	v_fma_f64 v[38:39], v[62:63], s[54:55], v[125:126]
	v_fma_f64 v[247:248], v[62:63], s[40:41], v[42:43]
	v_add_f64 v[137:138], v[0:1], v[137:138]
	v_add_f64 v[197:198], v[231:232], v[197:198]
	;; [unrolled: 1-line block ×3, first 2 shown]
	v_fma_f64 v[231:232], v[58:59], s[36:37], v[169:170]
	v_fma_f64 v[239:240], v[105:106], s[54:55], v[171:172]
	;; [unrolled: 1-line block ×4, first 2 shown]
	v_mul_f64 v[193:194], v[113:114], s[4:5]
	v_add_f64 v[141:142], v[0:1], v[141:142]
	v_add_f64 v[111:112], v[0:1], v[111:112]
	v_add_f64 v[56:57], v[56:57], -v[12:13]
	v_add_f64 v[225:226], v[241:242], v[225:226]
	v_mul_f64 v[187:188], v[113:114], s[10:11]
	v_mul_f64 v[189:190], v[113:114], s[6:7]
	;; [unrolled: 1-line block ×4, first 2 shown]
	v_add_f64 v[24:25], v[24:25], v[28:29]
	v_add_f64 v[26:27], v[26:27], v[30:31]
	v_fma_f64 v[28:29], v[58:59], s[26:27], v[64:65]
	v_add_f64 v[36:37], v[36:37], v[127:128]
	v_fma_f64 v[127:128], v[58:59], s[24:25], v[66:67]
	;; [unrolled: 2-line block ×3, first 2 shown]
	v_add_f64 v[219:220], v[227:228], v[221:222]
	v_add_f64 v[137:138], v[233:234], v[137:138]
	v_fma_f64 v[233:234], v[105:106], s[20:21], v[181:182]
	v_add_f64 v[223:224], v[247:248], v[223:224]
	v_mul_f64 v[199:200], v[109:110], s[16:17]
	v_mul_f64 v[113:114], v[113:114], s[18:19]
	v_fma_f64 v[235:236], v[103:104], s[38:39], v[183:184]
	v_mul_f64 v[40:41], v[109:110], s[12:13]
	v_add_f64 v[42:43], v[42:43], v[111:112]
	v_mul_f64 v[203:204], v[109:110], s[22:23]
	v_mul_f64 v[209:210], v[101:102], s[10:11]
	v_add_f64 v[133:134], v[0:1], v[133:134]
	v_fma_f64 v[125:126], v[62:63], s[28:29], v[125:126]
	v_add_f64 v[135:136], v[0:1], v[135:136]
	v_add_f64 v[129:130], v[0:1], v[129:130]
	v_add_f64 v[20:21], v[20:21], v[24:25]
	v_add_f64 v[22:23], v[22:23], v[26:27]
	v_fma_f64 v[24:25], v[105:106], s[40:41], v[177:178]
	v_add_f64 v[36:37], v[237:238], v[36:37]
	v_fma_f64 v[237:238], v[103:104], s[46:47], v[185:186]
	v_add_f64 v[28:29], v[28:29], v[38:39]
	v_add_f64 v[38:39], v[127:128], v[217:218]
	v_add_f64 v[30:31], v[30:31], v[219:220]
	v_fma_f64 v[219:220], v[105:106], s[34:35], v[161:162]
	v_fma_f64 v[217:218], v[105:106], s[52:53], v[159:160]
	v_add_f64 v[137:138], v[231:232], v[137:138]
	v_fma_f64 v[26:27], v[105:106], s[24:25], v[179:180]
	v_add_f64 v[127:128], v[239:240], v[197:198]
	v_fma_f64 v[239:240], v[103:104], s[24:25], v[187:188]
	v_fma_f64 v[241:242], v[99:100], s[26:27], v[199:200]
	;; [unrolled: 1-line block ×3, first 2 shown]
	v_add_f64 v[131:132], v[0:1], v[131:132]
	v_fma_f64 v[117:118], v[62:63], s[34:35], v[117:118]
	v_add_f64 v[44:45], v[44:45], -v[8:9]
	v_mul_f64 v[213:214], v[101:102], s[18:19]
	v_fma_f64 v[64:65], v[58:59], s[48:49], v[64:65]
	v_fma_f64 v[54:55], v[58:59], s[30:31], v[54:55]
	v_add_f64 v[20:21], v[32:33], v[20:21]
	v_add_f64 v[22:23], v[34:35], v[22:23]
	v_fma_f64 v[34:35], v[103:104], s[42:43], v[193:194]
	v_add_f64 v[36:37], v[243:244], v[36:37]
	v_fma_f64 v[243:244], v[58:59], s[52:53], v[121:122]
	v_add_f64 v[24:25], v[24:25], v[28:29]
	v_add_f64 v[28:29], v[233:234], v[38:39]
	v_fma_f64 v[38:39], v[99:100], s[36:37], v[201:202]
	v_fma_f64 v[121:122], v[58:59], s[38:39], v[121:122]
	;; [unrolled: 1-line block ×3, first 2 shown]
	v_add_f64 v[137:138], v[217:218], v[137:138]
	v_add_f64 v[26:27], v[26:27], v[30:31]
	;; [unrolled: 1-line block ×3, first 2 shown]
	v_fma_f64 v[127:128], v[99:100], s[52:53], v[203:204]
	v_fma_f64 v[50:51], v[58:59], s[34:35], v[50:51]
	v_add_f64 v[119:120], v[119:120], v[129:130]
	v_fma_f64 v[52:53], v[58:59], s[54:55], v[52:53]
	v_add_f64 v[117:118], v[117:118], v[131:132]
	v_add_f64 v[46:47], v[10:11], v[46:47]
	v_fma_f64 v[143:144], v[107:108], s[14:15], v[145:146]
	v_mul_f64 v[205:206], v[109:110], s[4:5]
	v_mul_f64 v[207:208], v[109:110], s[18:19]
	v_add_f64 v[16:17], v[16:17], v[20:21]
	v_add_f64 v[18:19], v[18:19], v[22:23]
	;; [unrolled: 1-line block ×3, first 2 shown]
	v_fma_f64 v[22:23], v[62:63], s[24:25], v[167:168]
	v_add_f64 v[36:37], v[237:238], v[36:37]
	v_add_f64 v[139:140], v[219:220], v[225:226]
	v_fma_f64 v[225:226], v[105:106], s[46:47], v[115:116]
	v_add_f64 v[111:112], v[243:244], v[223:224]
	v_add_f64 v[42:43], v[121:122], v[42:43]
	;; [unrolled: 3-line block ×4, first 2 shown]
	v_fma_f64 v[115:116], v[105:106], s[30:31], v[115:116]
	v_mul_f64 v[211:212], v[101:102], s[4:5]
	v_fma_f64 v[145:146], v[107:108], s[14:15], -v[145:146]
	v_fma_f64 v[221:222], v[107:108], s[12:13], v[147:148]
	v_fma_f64 v[147:148], v[107:108], s[12:13], -v[147:148]
	v_fma_f64 v[227:228], v[107:108], s[10:11], v[149:150]
	v_fma_f64 v[149:150], v[107:108], s[10:11], -v[149:150]
	v_add_f64 v[12:13], v[12:13], v[16:17]
	v_add_f64 v[14:15], v[14:15], v[18:19]
	;; [unrolled: 1-line block ×3, first 2 shown]
	v_fma_f64 v[18:19], v[58:59], s[40:41], v[169:170]
	v_add_f64 v[36:37], v[38:39], v[36:37]
	v_add_f64 v[22:23], v[22:23], v[141:142]
	v_fma_f64 v[38:39], v[58:59], s[42:43], v[175:176]
	v_add_f64 v[111:112], v[225:226], v[111:112]
	v_fma_f64 v[165:166], v[99:100], s[30:31], v[40:41]
	v_fma_f64 v[58:59], v[58:59], s[50:51], v[66:67]
	;; [unrolled: 1-line block ×3, first 2 shown]
	v_fma_f64 v[151:152], v[107:108], s[4:5], -v[151:152]
	v_fma_f64 v[197:198], v[107:108], s[16:17], v[153:154]
	v_fma_f64 v[153:154], v[107:108], s[16:17], -v[153:154]
	v_fma_f64 v[231:232], v[103:104], s[36:37], v[195:196]
	v_add_f64 v[28:29], v[32:33], v[28:29]
	v_fma_f64 v[32:33], v[107:108], s[18:19], v[155:156]
	v_fma_f64 v[155:156], v[107:108], s[18:19], -v[155:156]
	v_fma_f64 v[217:218], v[107:108], s[22:23], v[157:158]
	v_fma_f64 v[157:158], v[107:108], s[22:23], -v[157:158]
	v_fma_f64 v[219:220], v[107:108], s[6:7], v[48:49]
	v_add_f64 v[24:25], v[127:128], v[24:25]
	v_add_f64 v[30:31], v[167:168], v[30:31]
	v_fma_f64 v[137:138], v[95:96], s[34:35], v[213:214]
	v_mul_f64 v[167:168], v[109:110], s[6:7]
	v_add_f64 v[16:17], v[18:19], v[16:17]
	v_fma_f64 v[18:19], v[105:106], s[38:39], v[159:160]
	v_fma_f64 v[159:160], v[62:63], s[52:53], v[163:164]
	v_add_f64 v[22:23], v[38:39], v[22:23]
	v_fma_f64 v[38:39], v[105:106], s[44:45], v[161:162]
	v_fma_f64 v[62:63], v[62:63], s[46:47], v[123:124]
	v_add_f64 v[111:112], v[121:122], v[111:112]
	v_add_f64 v[34:35], v[165:166], v[34:35]
	v_mul_f64 v[165:166], v[44:45], s[46:47]
	v_mul_f64 v[109:110], v[109:110], s[10:11]
	v_fma_f64 v[48:49], v[107:108], s[6:7], -v[48:49]
	v_add_f64 v[50:51], v[50:51], v[119:120]
	v_add_f64 v[52:53], v[52:53], v[117:118]
	v_fma_f64 v[107:108], v[105:106], s[28:29], v[171:172]
	v_fma_f64 v[117:118], v[105:106], s[48:49], v[173:174]
	;; [unrolled: 1-line block ×3, first 2 shown]
	v_add_f64 v[42:43], v[115:116], v[42:43]
	v_fma_f64 v[71:72], v[103:104], s[34:35], v[113:114]
	v_add_f64 v[123:124], v[2:3], v[143:144]
	v_fma_f64 v[235:236], v[99:100], s[44:45], v[207:208]
	;; [unrolled: 2-line block ×3, first 2 shown]
	v_mul_f64 v[139:140], v[101:102], s[22:23]
	v_add_f64 v[16:17], v[18:19], v[16:17]
	v_add_f64 v[18:19], v[125:126], v[133:134]
	;; [unrolled: 1-line block ×4, first 2 shown]
	v_fma_f64 v[38:39], v[103:104], s[20:21], v[193:194]
	v_add_f64 v[0:1], v[62:63], v[0:1]
	v_mul_f64 v[62:63], v[56:57], s[50:51]
	v_fma_f64 v[125:126], v[46:47], s[12:13], v[165:166]
	v_mul_f64 v[141:142], v[97:98], s[14:15]
	v_fma_f64 v[113:114], v[99:100], s[50:51], v[109:110]
	v_fma_f64 v[115:116], v[103:104], s[40:41], v[195:196]
	v_add_f64 v[24:25], v[137:138], v[24:25]
	v_fma_f64 v[137:138], v[103:104], s[28:29], v[189:190]
	v_add_f64 v[50:51], v[107:108], v[50:51]
	;; [unrolled: 2-line block ×3, first 2 shown]
	v_fma_f64 v[117:118], v[103:104], s[30:31], v[185:186]
	v_mul_f64 v[215:216], v[101:102], s[14:15]
	v_fma_f64 v[233:234], v[99:100], s[42:43], v[205:206]
	v_add_f64 v[26:27], v[245:246], v[26:27]
	v_add_f64 v[42:43], v[71:72], v[42:43]
	;; [unrolled: 1-line block ×3, first 2 shown]
	v_mul_f64 v[169:170], v[101:102], s[6:7]
	v_add_f64 v[18:19], v[64:65], v[18:19]
	v_fma_f64 v[64:65], v[105:106], s[36:37], v[177:178]
	v_fma_f64 v[161:162], v[95:96], s[52:53], v[139:140]
	v_add_f64 v[16:17], v[38:39], v[16:17]
	v_add_f64 v[38:39], v[54:55], v[121:122]
	v_fma_f64 v[54:55], v[105:106], s[50:51], v[179:180]
	v_add_f64 v[0:1], v[58:59], v[0:1]
	v_fma_f64 v[105:106], v[105:106], s[42:43], v[181:182]
	;; [unrolled: 2-line block ×3, first 2 shown]
	v_mul_f64 v[121:122], v[91:92], s[42:43]
	v_fma_f64 v[163:164], v[93:94], s[40:41], v[141:142]
	v_fma_f64 v[223:224], v[99:100], s[54:55], v[167:168]
	v_add_f64 v[36:37], v[127:128], v[36:37]
	v_add_f64 v[66:67], v[113:114], v[111:112]
	;; [unrolled: 1-line block ×6, first 2 shown]
	v_mul_f64 v[145:146], v[101:102], s[12:13]
	v_add_f64 v[8:9], v[8:9], v[12:13]
	v_fma_f64 v[12:13], v[99:100], s[24:25], v[109:110]
	v_mul_f64 v[101:102], v[101:102], s[16:17]
	v_add_f64 v[18:19], v[64:65], v[18:19]
	v_fma_f64 v[40:41], v[99:100], s[46:47], v[40:41]
	v_fma_f64 v[109:110], v[99:100], s[28:29], v[167:168]
	v_add_f64 v[50:51], v[107:108], v[50:51]
	v_add_f64 v[38:39], v[54:55], v[38:39]
	v_fma_f64 v[54:55], v[103:104], s[50:51], v[187:188]
	v_add_f64 v[0:1], v[105:106], v[0:1]
	v_fma_f64 v[103:104], v[103:104], s[26:27], v[191:192]
	v_fma_f64 v[149:150], v[99:100], s[38:39], v[203:204]
	;; [unrolled: 1-line block ×3, first 2 shown]
	v_add_f64 v[52:53], v[117:118], v[52:53]
	v_fma_f64 v[153:154], v[99:100], s[48:49], v[199:200]
	v_fma_f64 v[159:160], v[99:100], s[40:41], v[201:202]
	;; [unrolled: 1-line block ×3, first 2 shown]
	v_add_f64 v[22:23], v[115:116], v[22:23]
	v_add_f64 v[26:27], v[233:234], v[26:27]
	v_fma_f64 v[175:176], v[95:96], s[36:37], v[215:216]
	v_mul_f64 v[64:65], v[97:98], s[22:23]
	v_mul_f64 v[131:132], v[97:98], s[12:13]
	;; [unrolled: 1-line block ×3, first 2 shown]
	v_add_f64 v[58:59], v[58:59], v[71:72]
	v_fma_f64 v[71:72], v[89:90], s[4:5], v[121:122]
	v_mul_f64 v[105:106], v[87:88], s[26:27]
	v_fma_f64 v[225:226], v[95:96], s[54:55], v[169:170]
	v_add_f64 v[28:29], v[161:162], v[28:29]
	v_add_f64 v[30:31], v[163:164], v[30:31]
	;; [unrolled: 1-line block ×6, first 2 shown]
	v_mul_f64 v[137:138], v[97:98], s[6:7]
	v_fma_f64 v[117:118], v[95:96], s[46:47], v[145:146]
	v_mul_f64 v[161:162], v[97:98], s[10:11]
	v_add_f64 v[12:13], v[12:13], v[42:43]
	v_mul_f64 v[42:43], v[97:98], s[16:17]
	v_add_f64 v[16:17], v[40:41], v[16:17]
	v_fma_f64 v[40:41], v[95:96], s[48:49], v[101:102]
	v_fma_f64 v[101:102], v[95:96], s[26:27], v[101:102]
	v_mul_f64 v[97:98], v[97:98], s[4:5]
	v_fma_f64 v[163:164], v[95:96], s[28:29], v[169:170]
	v_fma_f64 v[145:146], v[95:96], s[30:31], v[145:146]
	v_add_f64 v[50:51], v[153:154], v[50:51]
	v_add_f64 v[52:53], v[159:160], v[52:53]
	v_fma_f64 v[153:154], v[95:96], s[24:25], v[209:210]
	v_fma_f64 v[159:160], v[95:96], s[42:43], v[211:212]
	v_add_f64 v[22:23], v[109:110], v[22:23]
	v_add_f64 v[26:27], v[175:176], v[26:27]
	;; [unrolled: 1-line block ×5, first 2 shown]
	v_fma_f64 v[149:150], v[95:96], s[44:45], v[213:214]
	v_fma_f64 v[151:152], v[95:96], s[40:41], v[215:216]
	v_add_f64 v[0:1], v[99:100], v[0:1]
	v_fma_f64 v[95:96], v[95:96], s[38:39], v[139:140]
	v_fma_f64 v[147:148], v[93:94], s[52:53], v[64:65]
	;; [unrolled: 1-line block ×4, first 2 shown]
	v_add_f64 v[58:59], v[71:72], v[58:59]
	v_fma_f64 v[71:72], v[85:86], s[16:17], v[105:106]
	v_mul_f64 v[103:104], v[83:84], s[34:35]
	v_add_f64 v[34:35], v[225:226], v[34:35]
	v_fma_f64 v[109:110], v[93:94], s[54:55], v[137:138]
	v_add_f64 v[20:21], v[117:118], v[20:21]
	v_fma_f64 v[117:118], v[93:94], s[50:51], v[161:162]
	v_fma_f64 v[139:140], v[93:94], s[48:49], v[42:43]
	v_add_f64 v[40:41], v[40:41], v[66:67]
	v_add_f64 v[12:13], v[101:102], v[12:13]
	v_fma_f64 v[66:67], v[93:94], s[42:43], v[97:98]
	v_fma_f64 v[97:98], v[93:94], s[20:21], v[97:98]
	v_add_f64 v[16:17], v[163:164], v[16:17]
	v_fma_f64 v[101:102], v[93:94], s[24:25], v[161:162]
	v_fma_f64 v[42:43], v[93:94], s[26:27], v[42:43]
	v_add_f64 v[18:19], v[149:150], v[18:19]
	v_add_f64 v[38:39], v[151:152], v[38:39]
	v_fma_f64 v[131:132], v[93:94], s[30:31], v[131:132]
	v_fma_f64 v[143:144], v[93:94], s[34:35], v[143:144]
	;; [unrolled: 1-line block ×4, first 2 shown]
	v_add_f64 v[0:1], v[95:96], v[0:1]
	v_fma_f64 v[93:94], v[93:94], s[28:29], v[137:138]
	v_add_f64 v[22:23], v[145:146], v[22:23]
	v_add_f64 v[50:51], v[153:154], v[50:51]
	;; [unrolled: 1-line block ×4, first 2 shown]
	v_fma_f64 v[71:72], v[81:82], s[18:19], v[103:104]
	v_mul_f64 v[99:100], v[79:80], s[38:39]
	v_add_f64 v[36:37], v[147:148], v[36:37]
	v_add_f64 v[10:11], v[10:11], v[14:15]
	;; [unrolled: 1-line block ×4, first 2 shown]
	v_mul_u32_u24_e32 v133, 0x242, v249
	v_add_f64 v[4:5], v[4:5], v[8:9]
	v_add_f64 v[8:9], v[109:110], v[28:29]
	;; [unrolled: 1-line block ×9, first 2 shown]
	v_lshlrev_b32_e32 v134, 3, v133
	v_add_f64 v[0:1], v[93:94], v[0:1]
	v_add_f64 v[22:23], v[42:43], v[22:23]
	;; [unrolled: 1-line block ×4, first 2 shown]
	v_add_nc_u32_e32 v133, 0, v134
	v_add_f64 v[58:59], v[71:72], v[58:59]
	v_fma_f64 v[71:72], v[77:78], s[22:23], v[99:100]
	v_mul_f64 v[95:96], v[75:76], s[28:29]
	v_add_f64 v[32:33], v[2:3], v[32:33]
	v_mad_u32_u24 v16, 0x88, v70, v133
	v_add_f64 v[50:51], v[2:3], v[155:156]
	v_add_f64 v[113:114], v[2:3], v[221:222]
	;; [unrolled: 1-line block ×4, first 2 shown]
	ds_write2_b64 v16, v[30:31], v[36:37] offset0:2 offset1:3
	v_mul_f64 v[30:31], v[44:45], s[42:43]
	ds_write2_b64 v16, v[14:15], v[24:25] offset0:4 offset1:5
	v_add_f64 v[24:25], v[6:7], v[10:11]
	v_mul_f64 v[10:11], v[44:45], s[48:49]
	ds_write2_b64 v16, v[4:5], v[8:9] offset1:1
	ds_write2_b64 v16, v[26:27], v[20:21] offset0:6 offset1:7
	v_mul_f64 v[4:5], v[44:45], s[28:29]
	ds_write2_b64 v16, v[28:29], v[12:13] offset0:8 offset1:9
	ds_write2_b64 v16, v[22:23], v[34:35] offset0:10 offset1:11
	;; [unrolled: 1-line block ×4, first 2 shown]
	v_mul_f64 v[12:13], v[44:45], s[24:25]
	ds_write_b64 v16, v[0:1] offset:128
	v_mul_f64 v[0:1], v[44:45], s[36:37]
	v_lshlrev_b32_e32 v14, 3, v70
	v_add_f64 v[52:53], v[71:72], v[58:59]
	v_fma_f64 v[54:55], v[73:74], s[6:7], v[95:96]
	v_mul_f64 v[6:7], v[44:45], s[34:35]
	v_mul_f64 v[8:9], v[44:45], s[52:53]
	v_add_nc_u32_e32 v67, v133, v14
	v_add3_u32 v131, 0, v14, v134
	v_fma_f64 v[14:15], v[46:47], s[12:13], -v[165:166]
	v_mul_f64 v[38:39], v[56:57], s[34:35]
	v_fma_f64 v[21:22], v[46:47], s[4:5], -v[30:31]
	v_add_f64 v[129:130], v[2:3], v[197:198]
	v_add_f64 v[58:59], v[2:3], v[217:218]
	v_fma_f64 v[34:35], v[46:47], s[16:17], v[10:11]
	v_fma_f64 v[10:11], v[46:47], s[16:17], -v[10:11]
	v_add_f64 v[64:65], v[2:3], v[157:158]
	v_add_f64 v[71:72], v[2:3], v[219:220]
	;; [unrolled: 1-line block ×3, first 2 shown]
	v_fma_f64 v[28:29], v[46:47], s[6:7], v[4:5]
	v_fma_f64 v[4:5], v[46:47], s[6:7], -v[4:5]
	v_fma_f64 v[36:37], v[46:47], s[10:11], v[12:13]
	v_mul_f64 v[44:45], v[56:57], s[48:49]
	v_fma_f64 v[40:41], v[46:47], s[14:15], v[0:1]
	v_fma_f64 v[0:1], v[46:47], s[14:15], -v[0:1]
	v_mul_f64 v[48:49], v[56:57], s[40:41]
	v_add_f64 v[17:18], v[54:55], v[52:53]
	v_fma_f64 v[19:20], v[46:47], s[4:5], v[30:31]
	v_fma_f64 v[26:27], v[46:47], s[18:19], v[6:7]
	v_fma_f64 v[6:7], v[46:47], s[18:19], -v[6:7]
	v_fma_f64 v[30:31], v[46:47], s[22:23], v[8:9]
	v_fma_f64 v[8:9], v[46:47], s[22:23], -v[8:9]
	v_fma_f64 v[12:13], v[46:47], s[10:11], -v[12:13]
	v_mul_f64 v[42:43], v[56:57], s[54:55]
	v_add_f64 v[14:15], v[14:15], v[111:112]
	v_add_f64 v[21:22], v[21:22], v[115:116]
	v_mul_f64 v[46:47], v[56:57], s[30:31]
	v_mul_f64 v[52:53], v[56:57], s[42:43]
	v_add_f64 v[32:33], v[34:35], v[32:33]
	v_fma_f64 v[34:35], v[60:61], s[10:11], -v[62:63]
	v_add_f64 v[10:11], v[10:11], v[50:51]
	v_fma_f64 v[50:51], v[60:61], s[18:19], v[38:39]
	v_fma_f64 v[38:39], v[60:61], s[18:19], -v[38:39]
	v_add_f64 v[4:5], v[4:5], v[127:128]
	v_add_f64 v[36:37], v[36:37], v[58:59]
	v_fma_f64 v[58:59], v[60:61], s[16:17], v[44:45]
	v_fma_f64 v[44:45], v[60:61], s[16:17], -v[44:45]
	v_add_f64 v[0:1], v[0:1], v[2:3]
	v_fma_f64 v[2:3], v[60:61], s[14:15], v[48:49]
	v_add_f64 v[19:20], v[19:20], v[113:114]
	v_mul_f64 v[54:55], v[56:57], s[38:39]
	v_add_f64 v[6:7], v[6:7], v[123:124]
	v_add_f64 v[40:41], v[40:41], v[71:72]
	;; [unrolled: 1-line block ×4, first 2 shown]
	v_fma_f64 v[56:57], v[60:61], s[6:7], v[42:43]
	v_fma_f64 v[42:43], v[60:61], s[6:7], -v[42:43]
	v_fma_f64 v[48:49], v[60:61], s[14:15], -v[48:49]
	v_fma_f64 v[62:63], v[60:61], s[12:13], v[46:47]
	v_fma_f64 v[46:47], v[60:61], s[12:13], -v[46:47]
	v_fma_f64 v[64:65], v[60:61], s[4:5], v[52:53]
	v_mul_f64 v[71:72], v[91:92], s[28:29]
	v_fma_f64 v[52:53], v[60:61], s[4:5], -v[52:53]
	v_add_f64 v[14:15], v[34:35], v[14:15]
	v_mul_f64 v[34:35], v[91:92], s[36:37]
	v_add_f64 v[21:22], v[38:39], v[21:22]
	v_mul_f64 v[38:39], v[91:92], s[50:51]
	v_add_f64 v[26:27], v[26:27], v[119:120]
	v_add_f64 v[4:5], v[44:45], v[4:5]
	v_mul_f64 v[44:45], v[91:92], s[44:45]
	v_add_f64 v[2:3], v[2:3], v[32:33]
	v_fma_f64 v[32:33], v[89:90], s[4:5], -v[121:122]
	v_add_f64 v[28:29], v[28:29], v[125:126]
	v_add_f64 v[30:31], v[30:31], v[129:130]
	v_fma_f64 v[93:94], v[60:61], s[22:23], v[54:55]
	v_mul_f64 v[97:98], v[91:92], s[48:49]
	v_fma_f64 v[54:55], v[60:61], s[22:23], -v[54:55]
	v_add_f64 v[19:20], v[50:51], v[19:20]
	v_add_f64 v[6:7], v[42:43], v[6:7]
	v_mul_f64 v[42:43], v[91:92], s[38:39]
	v_add_f64 v[10:11], v[48:49], v[10:11]
	v_add_f64 v[8:9], v[46:47], v[8:9]
	v_mul_f64 v[46:47], v[91:92], s[30:31]
	v_fma_f64 v[48:49], v[89:90], s[6:7], v[71:72]
	v_fma_f64 v[50:51], v[89:90], s[6:7], -v[71:72]
	v_add_f64 v[12:13], v[52:53], v[12:13]
	v_fma_f64 v[52:53], v[89:90], s[14:15], v[34:35]
	v_fma_f64 v[34:35], v[89:90], s[14:15], -v[34:35]
	v_fma_f64 v[60:61], v[89:90], s[10:11], v[38:39]
	v_fma_f64 v[38:39], v[89:90], s[10:11], -v[38:39]
	v_add_f64 v[36:37], v[64:65], v[36:37]
	v_fma_f64 v[64:65], v[89:90], s[18:19], v[44:45]
	v_fma_f64 v[44:45], v[89:90], s[18:19], -v[44:45]
	v_add_f64 v[14:15], v[32:33], v[14:15]
	v_mul_f64 v[32:33], v[87:88], s[50:51]
	v_add_f64 v[26:27], v[56:57], v[26:27]
	v_add_f64 v[28:29], v[58:59], v[28:29]
	;; [unrolled: 1-line block ×3, first 2 shown]
	v_fma_f64 v[56:57], v[89:90], s[16:17], v[97:98]
	v_fma_f64 v[58:59], v[89:90], s[16:17], -v[97:98]
	v_add_f64 v[0:1], v[54:55], v[0:1]
	v_fma_f64 v[54:55], v[89:90], s[22:23], v[42:43]
	v_fma_f64 v[42:43], v[89:90], s[22:23], -v[42:43]
	v_mul_f64 v[62:63], v[87:88], s[52:53]
	v_mul_f64 v[71:72], v[87:88], s[30:31]
	v_fma_f64 v[91:92], v[89:90], s[12:13], v[46:47]
	v_fma_f64 v[46:47], v[89:90], s[12:13], -v[46:47]
	v_add_f64 v[19:20], v[48:49], v[19:20]
	v_add_f64 v[21:22], v[50:51], v[21:22]
	v_mul_f64 v[48:49], v[87:88], s[28:29]
	v_mul_f64 v[50:51], v[87:88], s[20:21]
	v_add_f64 v[4:5], v[34:35], v[4:5]
	v_mul_f64 v[34:35], v[87:88], s[40:41]
	v_add_f64 v[8:9], v[38:39], v[8:9]
	v_fma_f64 v[38:39], v[85:86], s[16:17], -v[105:106]
	v_add_f64 v[12:13], v[44:45], v[12:13]
	v_fma_f64 v[44:45], v[85:86], s[10:11], v[32:33]
	v_fma_f64 v[32:33], v[85:86], s[10:11], -v[32:33]
	v_add_f64 v[40:41], v[93:94], v[40:41]
	v_add_f64 v[28:29], v[52:53], v[28:29]
	;; [unrolled: 1-line block ×5, first 2 shown]
	v_mul_f64 v[52:53], v[87:88], s[34:35]
	v_add_f64 v[2:3], v[54:55], v[2:3]
	v_fma_f64 v[54:55], v[85:86], s[22:23], v[62:63]
	v_add_f64 v[10:11], v[42:43], v[10:11]
	v_fma_f64 v[42:43], v[85:86], s[22:23], -v[62:63]
	v_fma_f64 v[56:57], v[85:86], s[12:13], v[71:72]
	v_add_f64 v[36:37], v[64:65], v[36:37]
	v_fma_f64 v[58:59], v[85:86], s[12:13], -v[71:72]
	;; [unrolled: 3-line block ×3, first 2 shown]
	v_fma_f64 v[48:49], v[85:86], s[4:5], v[50:51]
	v_fma_f64 v[50:51], v[85:86], s[4:5], -v[50:51]
	v_mul_f64 v[62:63], v[83:84], s[48:49]
	v_fma_f64 v[64:65], v[85:86], s[14:15], v[34:35]
	v_fma_f64 v[34:35], v[85:86], s[14:15], -v[34:35]
	v_mul_f64 v[87:88], v[83:84], s[40:41]
	v_add_f64 v[14:15], v[38:39], v[14:15]
	v_mul_f64 v[38:39], v[83:84], s[38:39]
	v_add_f64 v[4:5], v[32:33], v[4:5]
	;; [unrolled: 2-line block ×3, first 2 shown]
	v_fma_f64 v[71:72], v[85:86], s[18:19], v[52:53]
	v_fma_f64 v[52:53], v[85:86], s[18:19], -v[52:53]
	v_add_f64 v[19:20], v[54:55], v[19:20]
	v_mul_f64 v[54:55], v[83:84], s[46:47]
	v_add_f64 v[21:22], v[42:43], v[21:22]
	v_add_f64 v[26:27], v[56:57], v[26:27]
	v_mul_f64 v[42:43], v[83:84], s[20:21]
	v_add_f64 v[6:7], v[58:59], v[6:7]
	;; [unrolled: 3-line block ×3, first 2 shown]
	v_fma_f64 v[46:47], v[81:82], s[18:19], -v[103:104]
	v_add_f64 v[2:3], v[48:49], v[2:3]
	v_fma_f64 v[48:49], v[81:82], s[16:17], v[62:63]
	v_add_f64 v[10:11], v[50:51], v[10:11]
	v_fma_f64 v[50:51], v[81:82], s[16:17], -v[62:63]
	v_fma_f64 v[56:57], v[81:82], s[14:15], v[87:88]
	v_add_f64 v[12:13], v[34:35], v[12:13]
	v_fma_f64 v[34:35], v[81:82], s[14:15], -v[87:88]
	v_fma_f64 v[58:59], v[81:82], s[22:23], v[38:39]
	v_fma_f64 v[38:39], v[81:82], s[22:23], -v[38:39]
	v_mul_f64 v[62:63], v[79:80], s[24:25]
	v_add_f64 v[36:37], v[64:65], v[36:37]
	v_fma_f64 v[64:65], v[81:82], s[6:7], v[32:33]
	v_fma_f64 v[32:33], v[81:82], s[6:7], -v[32:33]
	v_add_f64 v[30:31], v[60:61], v[30:31]
	v_add_f64 v[40:41], v[71:72], v[40:41]
	;; [unrolled: 1-line block ×3, first 2 shown]
	v_fma_f64 v[52:53], v[81:82], s[4:5], v[42:43]
	v_fma_f64 v[42:43], v[81:82], s[4:5], -v[42:43]
	v_fma_f64 v[60:61], v[81:82], s[12:13], v[54:55]
	v_fma_f64 v[54:55], v[81:82], s[12:13], -v[54:55]
	;; [unrolled: 2-line block ×3, first 2 shown]
	v_add_f64 v[14:15], v[46:47], v[14:15]
	v_mul_f64 v[46:47], v[79:80], s[42:43]
	v_add_f64 v[19:20], v[48:49], v[19:20]
	v_mul_f64 v[48:49], v[79:80], s[44:45]
	;; [unrolled: 2-line block ×6, first 2 shown]
	v_add_f64 v[4:5], v[38:39], v[4:5]
	v_fma_f64 v[38:39], v[77:78], s[10:11], v[62:63]
	v_add_f64 v[12:13], v[32:33], v[12:13]
	v_fma_f64 v[32:33], v[77:78], s[10:11], -v[62:63]
	v_add_f64 v[30:31], v[52:53], v[30:31]
	v_add_f64 v[8:9], v[42:43], v[8:9]
	;; [unrolled: 1-line block ×7, first 2 shown]
	v_fma_f64 v[42:43], v[77:78], s[4:5], v[46:47]
	v_fma_f64 v[44:45], v[77:78], s[4:5], -v[46:47]
	v_fma_f64 v[46:47], v[77:78], s[18:19], v[48:49]
	v_fma_f64 v[48:49], v[77:78], s[18:19], -v[48:49]
	;; [unrolled: 2-line block ×6, first 2 shown]
	v_mul_f64 v[64:65], v[75:76], s[36:37]
	v_fma_f64 v[71:72], v[77:78], s[22:23], -v[99:100]
	v_mul_f64 v[77:78], v[75:76], s[38:39]
	v_mul_f64 v[79:80], v[75:76], s[30:31]
	v_add_f64 v[19:20], v[38:39], v[19:20]
	v_mul_f64 v[38:39], v[75:76], s[34:35]
	v_mul_f64 v[81:82], v[75:76], s[24:25]
	v_add_f64 v[21:22], v[32:33], v[21:22]
	;; [unrolled: 3-line block ×3, first 2 shown]
	v_add_f64 v[6:7], v[44:45], v[6:7]
	v_add_f64 v[28:29], v[46:47], v[28:29]
	;; [unrolled: 1-line block ×11, first 2 shown]
	v_fma_f64 v[56:57], v[73:74], s[14:15], v[64:65]
	v_fma_f64 v[58:59], v[73:74], s[14:15], -v[64:65]
	v_fma_f64 v[60:61], v[73:74], s[22:23], v[77:78]
	v_fma_f64 v[62:63], v[73:74], s[12:13], v[79:80]
	v_fma_f64 v[64:65], v[73:74], s[12:13], -v[79:80]
	v_fma_f64 v[79:80], v[73:74], s[18:19], v[38:39]
	;; [unrolled: 3-line block ×3, first 2 shown]
	v_fma_f64 v[87:88], v[73:74], s[4:5], v[75:76]
	v_fma_f64 v[75:76], v[73:74], s[4:5], -v[75:76]
	v_fma_f64 v[32:33], v[73:74], s[16:17], -v[32:33]
	;; [unrolled: 1-line block ×4, first 2 shown]
	v_add_f64 v[71:72], v[71:72], v[14:15]
	v_fma_f64 v[73:74], v[73:74], s[6:7], -v[95:96]
	v_cmp_gt_u32_e64 s0, 17, v70
	v_add_nc_u32_e32 v132, 0x800, v131
	v_add_nc_u32_e32 v91, 0xc00, v131
	v_mov_b32_e32 v66, 0
	v_add_nc_u32_e32 v133, 0x400, v131
	s_waitcnt lgkmcnt(0)
	v_add_f64 v[19:20], v[56:57], v[19:20]
	v_add_f64 v[21:22], v[58:59], v[21:22]
	;; [unrolled: 1-line block ×4, first 2 shown]
	v_subrev_nc_u32_e32 v62, 17, v70
	v_add_f64 v[30:31], v[79:80], v[30:31]
	v_add_f64 v[44:45], v[83:84], v[44:45]
	;; [unrolled: 1-line block ×4, first 2 shown]
	v_cndmask_b32_e64 v135, v62, v70, s0
	v_add_f64 v[34:35], v[87:88], v[34:35]
	v_add_f64 v[40:41], v[75:76], v[40:41]
	v_add_f64 v[46:47], v[81:82], v[46:47]
	v_add_f64 v[32:33], v[32:33], v[12:13]
	v_add_f64 v[38:39], v[38:39], v[42:43]
	v_add_f64 v[63:64], v[73:74], v[71:72]
	v_add_f64 v[42:43], v[89:90], v[6:7]
	v_lshlrev_b32_e32 v65, 4, v135
	s_barrier
	buffer_gl0_inv
	ds_read_b64 v[77:78], v67
	ds_read2_b64 v[52:55], v131 offset0:34 offset1:68
	ds_read2_b64 v[48:51], v131 offset0:102 offset1:136
	;; [unrolled: 1-line block ×8, first 2 shown]
	s_waitcnt lgkmcnt(0)
	s_barrier
	buffer_gl0_inv
	ds_write2_b64 v16, v[24:25], v[17:18] offset1:1
	ds_write2_b64 v16, v[19:20], v[26:27] offset0:2 offset1:3
	ds_write2_b64 v16, v[28:29], v[30:31] offset0:4 offset1:5
	ds_write2_b64 v16, v[44:45], v[36:37] offset0:6 offset1:7
	v_lshlrev_b64 v[17:18], 4, v[65:66]
	ds_write2_b64 v16, v[34:35], v[40:41] offset0:8 offset1:9
	ds_write2_b64 v16, v[32:33], v[46:47] offset0:10 offset1:11
	;; [unrolled: 1-line block ×4, first 2 shown]
	v_add_co_u32 v17, s1, s8, v17
	v_add_co_ci_u32_e64 v18, s1, s9, v18, s1
	ds_write_b64 v16, v[63:64] offset:128
	s_waitcnt lgkmcnt(0)
	s_barrier
	buffer_gl0_inv
	s_clause 0xf
	global_load_dwordx4 v[81:84], v[17:18], off
	global_load_dwordx4 v[85:88], v[17:18], off offset:240
	global_load_dwordx4 v[95:98], v[17:18], off offset:16
	;; [unrolled: 1-line block ×15, first 2 shown]
	ds_read2_b64 v[63:66], v131 offset0:34 offset1:68
	ds_read2_b64 v[89:92], v91 offset0:126 offset1:160
	;; [unrolled: 1-line block ×4, first 2 shown]
	v_cmp_lt_u32_e64 s1, 16, v70
	s_waitcnt vmcnt(15)
	v_mul_f64 v[60:61], v[52:53], v[83:84]
	s_waitcnt vmcnt(14)
	v_mul_f64 v[75:76], v[73:74], v[87:88]
	s_waitcnt lgkmcnt(3)
	v_mul_f64 v[83:84], v[63:64], v[83:84]
	s_waitcnt vmcnt(13)
	v_mul_f64 v[93:94], v[54:55], v[97:98]
	s_waitcnt vmcnt(7)
	;; [unrolled: 2-line block ×4, first 2 shown]
	v_mul_f64 v[170:171], v[6:7], v[26:27]
	v_fma_f64 v[79:80], v[63:64], v[81:82], v[60:61]
	s_waitcnt lgkmcnt(2)
	v_mul_f64 v[60:61], v[91:92], v[87:88]
	v_fma_f64 v[63:64], v[91:92], v[85:86], v[75:76]
	v_mul_f64 v[75:76], v[71:72], v[103:104]
	v_fma_f64 v[91:92], v[52:53], v[81:82], -v[83:84]
	v_mul_f64 v[52:53], v[65:66], v[97:98]
	v_fma_f64 v[81:82], v[65:66], v[95:96], v[93:94]
	s_waitcnt lgkmcnt(1)
	v_mul_f64 v[83:84], v[121:122], v[109:110]
	v_fma_f64 v[93:94], v[73:74], v[85:86], -v[60:61]
	v_add_f64 v[105:106], v[79:80], -v[63:64]
	v_mul_f64 v[60:61], v[89:90], v[103:104]
	v_fma_f64 v[65:66], v[89:90], v[101:102], v[75:76]
	v_mul_f64 v[73:74], v[48:49], v[109:110]
	v_mul_f64 v[75:76], v[58:59], v[113:114]
	v_fma_f64 v[87:88], v[54:55], v[95:96], -v[52:53]
	v_mul_f64 v[95:96], v[56:57], v[138:139]
	v_fma_f64 v[83:84], v[48:49], v[107:108], -v[83:84]
	ds_read2_b64 v[52:55], v131 offset0:170 offset1:204
	s_waitcnt lgkmcnt(1)
	v_mul_f64 v[138:139], v[125:126], v[138:139]
	v_add_f64 v[97:98], v[91:92], v[93:94]
	v_mul_f64 v[99:100], v[105:106], s[46:47]
	v_fma_f64 v[89:90], v[71:72], v[101:102], -v[60:61]
	v_add_f64 v[109:110], v[81:82], -v[65:66]
	v_fma_f64 v[73:74], v[121:122], v[107:108], v[73:74]
	v_mul_f64 v[60:61], v[127:128], v[113:114]
	v_fma_f64 v[71:72], v[127:128], v[111:112], v[75:76]
	v_mul_f64 v[75:76], v[50:51], v[119:120]
	v_mul_f64 v[107:108], v[105:106], s[50:51]
	;; [unrolled: 1-line block ×3, first 2 shown]
	v_fma_f64 v[48:49], v[125:126], v[136:137], v[95:96]
	v_mul_f64 v[113:114], v[14:15], v[42:43]
	v_mul_f64 v[127:128], v[105:106], s[42:43]
	;; [unrolled: 1-line block ×3, first 2 shown]
	s_waitcnt lgkmcnt(0)
	v_mul_f64 v[140:141], v[52:53], v[46:47]
	v_fma_f64 v[95:96], v[56:57], v[136:137], -v[138:139]
	v_fma_f64 v[46:47], v[52:53], v[44:45], v[115:116]
	ds_read2_b64 v[136:139], v133 offset0:110 offset1:144
	v_mul_f64 v[115:116], v[12:13], v[34:35]
	v_mul_f64 v[154:155], v[105:106], s[40:41]
	v_fma_f64 v[121:122], v[97:98], s[12:13], -v[99:100]
	v_add_f64 v[101:102], v[87:88], v[89:90]
	v_mul_f64 v[103:104], v[109:110], s[42:43]
	v_mul_f64 v[125:126], v[109:110], s[34:35]
	v_fma_f64 v[85:86], v[58:59], v[111:112], -v[60:61]
	v_add_f64 v[111:112], v[73:74], -v[71:72]
	v_fma_f64 v[75:76], v[123:124], v[117:118], v[75:76]
	ds_read2_b64 v[58:61], v132 offset0:118 offset1:152
	v_fma_f64 v[148:149], v[97:98], s[10:11], -v[107:108]
	v_fma_f64 v[50:51], v[50:51], v[117:118], -v[119:120]
	v_add_f64 v[119:120], v[77:78], v[91:92]
	v_mul_f64 v[150:151], v[109:110], s[28:29]
	v_mul_f64 v[174:175], v[109:110], s[46:47]
	v_fma_f64 v[117:118], v[8:9], v[44:45], -v[140:141]
	v_mul_f64 v[8:9], v[54:55], v[38:39]
	v_fma_f64 v[38:39], v[54:55], v[36:37], v[142:143]
	v_mul_f64 v[44:45], v[0:1], v[30:31]
	ds_read2_b64 v[140:143], v132 offset0:50 offset1:84
	v_mul_f64 v[152:153], v[109:110], s[52:53]
	v_mul_f64 v[188:189], v[109:110], s[48:49]
	;; [unrolled: 1-line block ×4, first 2 shown]
	v_add_f64 v[144:145], v[77:78], v[121:122]
	v_fma_f64 v[99:100], v[97:98], s[12:13], v[99:100]
	v_fma_f64 v[146:147], v[101:102], s[4:5], -v[103:104]
	v_fma_f64 v[107:108], v[97:98], s[10:11], v[107:108]
	v_add_f64 v[121:122], v[83:84], v[85:86]
	v_mul_f64 v[123:124], v[111:112], s[34:35]
	v_add_f64 v[56:57], v[75:76], -v[48:49]
	s_waitcnt lgkmcnt(1)
	v_mul_f64 v[52:53], v[60:61], v[42:43]
	v_fma_f64 v[42:43], v[60:61], v[40:41], v[113:114]
	v_fma_f64 v[60:61], v[97:98], s[4:5], -v[127:128]
	v_fma_f64 v[113:114], v[97:98], s[16:17], -v[129:130]
	v_mul_f64 v[156:157], v[111:112], s[54:55]
	v_add_f64 v[160:161], v[119:120], v[87:88]
	v_add_f64 v[158:159], v[50:51], v[95:96]
	v_mul_f64 v[172:173], v[58:59], v[34:35]
	v_fma_f64 v[34:35], v[58:59], v[32:33], v[115:116]
	v_fma_f64 v[58:59], v[97:98], s[14:15], -v[154:155]
	s_waitcnt lgkmcnt(0)
	v_mul_f64 v[26:27], v[142:143], v[26:27]
	v_mul_f64 v[182:183], v[111:112], s[50:51]
	v_fma_f64 v[166:167], v[101:102], s[22:23], -v[152:153]
	v_mul_f64 v[168:169], v[111:112], s[30:31]
	v_fma_f64 v[200:201], v[101:102], s[16:17], -v[188:189]
	;; [unrolled: 2-line block ×3, first 2 shown]
	v_add_f64 v[54:55], v[146:147], v[144:145]
	v_add_f64 v[144:145], v[77:78], v[148:149]
	v_fma_f64 v[146:147], v[101:102], s[18:19], -v[125:126]
	v_fma_f64 v[148:149], v[121:122], s[18:19], -v[123:124]
	v_mul_f64 v[162:163], v[56:57], s[28:29]
	v_fma_f64 v[119:120], v[14:15], v[40:41], -v[52:53]
	v_fma_f64 v[52:53], v[101:102], s[6:7], -v[150:151]
	v_add_f64 v[40:41], v[77:78], v[60:61]
	v_add_f64 v[14:15], v[46:47], -v[42:43]
	v_mul_f64 v[60:61], v[111:112], s[48:49]
	v_add_f64 v[164:165], v[77:78], v[113:114]
	v_fma_f64 v[113:114], v[10:11], v[36:37], -v[8:9]
	v_mul_f64 v[8:9], v[136:137], v[30:31]
	v_fma_f64 v[36:37], v[136:137], v[28:29], v[44:45]
	v_add_f64 v[136:137], v[160:161], v[83:84]
	v_mul_f64 v[178:179], v[56:57], s[36:37]
	v_add_f64 v[58:59], v[77:78], v[58:59]
	v_fma_f64 v[115:116], v[12:13], v[32:33], -v[172:173]
	v_add_f64 v[12:13], v[38:39], -v[34:35]
	v_mul_f64 v[190:191], v[56:57], s[42:43]
	v_mul_f64 v[180:181], v[56:57], s[50:51]
	;; [unrolled: 1-line block ×5, first 2 shown]
	v_add_f64 v[10:11], v[146:147], v[144:145]
	v_add_f64 v[30:31], v[148:149], v[54:55]
	v_fma_f64 v[54:55], v[121:122], s[6:7], -v[156:157]
	v_mul_f64 v[144:145], v[56:57], s[48:49]
	v_fma_f64 v[146:147], v[158:159], s[6:7], -v[162:163]
	v_add_f64 v[52:53], v[52:53], v[40:41]
	v_fma_f64 v[40:41], v[142:143], v[24:25], v[170:171]
	v_mul_f64 v[142:143], v[105:106], s[34:35]
	v_add_f64 v[148:149], v[117:118], v[119:120]
	v_mul_f64 v[160:161], v[14:15], s[52:53]
	v_fma_f64 v[176:177], v[121:122], s[16:17], -v[60:61]
	v_fma_f64 v[44:45], v[0:1], v[28:29], -v[8:9]
	;; [unrolled: 1-line block ×4, first 2 shown]
	v_add_f64 v[164:165], v[166:167], v[164:165]
	v_add_f64 v[192:193], v[113:114], v[115:116]
	v_mul_f64 v[194:195], v[12:13], s[48:49]
	v_fma_f64 v[166:167], v[121:122], s[12:13], -v[168:169]
	s_waitcnt vmcnt(1)
	v_mul_f64 v[0:1], v[138:139], v[22:23]
	v_mul_f64 v[204:205], v[14:15], s[26:27]
	;; [unrolled: 1-line block ×6, first 2 shown]
	v_add_f64 v[8:9], v[54:55], v[10:11]
	v_add_f64 v[10:11], v[136:137], v[50:51]
	v_fma_f64 v[28:29], v[158:159], s[16:17], -v[144:145]
	v_add_f64 v[30:31], v[146:147], v[30:31]
	v_mul_f64 v[146:147], v[105:106], s[38:39]
	v_fma_f64 v[186:187], v[97:98], s[18:19], -v[142:143]
	v_mul_f64 v[105:106], v[105:106], s[28:29]
	v_fma_f64 v[32:33], v[148:149], s[22:23], -v[160:161]
	v_add_f64 v[52:53], v[176:177], v[52:53]
	v_mul_f64 v[176:177], v[14:15], s[50:51]
	v_add_f64 v[58:59], v[170:171], v[58:59]
	v_fma_f64 v[170:171], v[121:122], s[10:11], -v[182:183]
	v_fma_f64 v[54:55], v[6:7], v[24:25], -v[26:27]
	v_add_f64 v[6:7], v[36:37], -v[40:41]
	v_fma_f64 v[206:207], v[192:193], s[16:17], -v[194:195]
	v_add_f64 v[164:165], v[166:167], v[164:165]
	v_fma_f64 v[166:167], v[158:159], s[10:11], -v[180:181]
	v_mul_f64 v[234:235], v[14:15], s[20:21]
	v_fma_f64 v[127:128], v[97:98], s[4:5], v[127:128]
	v_fma_f64 v[129:130], v[97:98], s[16:17], v[129:130]
	v_mul_f64 v[56:57], v[56:57], s[30:31]
	v_fma_f64 v[150:151], v[101:102], s[6:7], v[150:151]
	v_add_f64 v[99:100], v[77:78], v[99:100]
	v_add_f64 v[10:11], v[10:11], v[117:118]
	;; [unrolled: 1-line block ×3, first 2 shown]
	v_fma_f64 v[103:104], v[101:102], s[4:5], v[103:104]
	v_fma_f64 v[28:29], v[97:98], s[22:23], -v[146:147]
	v_add_f64 v[186:187], v[77:78], v[186:187]
	v_add_f64 v[107:108], v[77:78], v[107:108]
	;; [unrolled: 1-line block ×4, first 2 shown]
	v_fma_f64 v[52:53], v[148:149], s[10:11], -v[176:177]
	v_mul_f64 v[172:173], v[12:13], s[38:39]
	v_add_f64 v[58:59], v[170:171], v[58:59]
	v_fma_f64 v[170:171], v[158:159], s[4:5], -v[190:191]
	v_add_f64 v[208:209], v[44:45], v[54:55]
	v_mul_f64 v[222:223], v[6:7], s[40:41]
	v_fma_f64 v[125:126], v[101:102], s[18:19], v[125:126]
	v_add_f64 v[164:165], v[166:167], v[164:165]
	v_fma_f64 v[166:167], v[148:149], s[6:7], -v[184:185]
	v_add_f64 v[127:128], v[77:78], v[127:128]
	v_add_f64 v[129:130], v[77:78], v[129:130]
	v_fma_f64 v[60:61], v[121:122], s[16:17], v[60:61]
	v_mul_f64 v[136:137], v[14:15], s[30:31]
	v_fma_f64 v[144:145], v[158:159], s[16:17], v[144:145]
	v_add_f64 v[10:11], v[10:11], v[113:114]
	v_mul_f64 v[26:27], v[12:13], s[40:41]
	v_add_f64 v[99:100], v[103:104], v[99:100]
	v_add_f64 v[28:29], v[77:78], v[28:29]
	;; [unrolled: 1-line block ×3, first 2 shown]
	v_fma_f64 v[200:201], v[121:122], s[14:15], -v[202:203]
	v_add_f64 v[206:207], v[206:207], v[30:31]
	v_mul_f64 v[210:211], v[6:7], s[24:25]
	v_add_f64 v[52:53], v[52:53], v[32:33]
	v_fma_f64 v[218:219], v[192:193], s[22:23], -v[172:173]
	v_fma_f64 v[32:33], v[2:3], v[20:21], -v[0:1]
	s_waitcnt vmcnt(0)
	v_mul_f64 v[0:1], v[140:141], v[18:19]
	v_add_f64 v[58:59], v[170:171], v[58:59]
	v_fma_f64 v[170:171], v[148:149], s[16:17], -v[204:205]
	v_mul_f64 v[18:19], v[4:5], v[18:19]
	v_add_f64 v[103:104], v[125:126], v[107:108]
	v_add_f64 v[164:165], v[166:167], v[164:165]
	v_fma_f64 v[166:167], v[192:193], s[4:5], -v[198:199]
	v_add_f64 v[127:128], v[150:151], v[127:128]
	v_fma_f64 v[150:151], v[121:122], s[12:13], v[168:169]
	v_fma_f64 v[107:108], v[121:122], s[18:19], v[123:124]
	;; [unrolled: 1-line block ×3, first 2 shown]
	v_add_f64 v[2:3], v[10:11], v[44:45]
	v_fma_f64 v[10:11], v[97:98], s[6:7], -v[105:106]
	v_fma_f64 v[125:126], v[158:159], s[14:15], v[178:179]
	v_add_f64 v[30:31], v[212:213], v[28:29]
	v_fma_f64 v[212:213], v[121:122], s[4:5], -v[214:215]
	v_add_f64 v[186:187], v[200:201], v[186:187]
	v_fma_f64 v[200:201], v[158:159], s[22:23], -v[224:225]
	v_fma_f64 v[28:29], v[138:139], v[20:21], v[22:23]
	v_mul_f64 v[22:23], v[111:112], s[38:39]
	v_add_f64 v[218:219], v[218:219], v[52:53]
	v_fma_f64 v[111:112], v[158:159], s[18:19], -v[228:229]
	v_fma_f64 v[52:53], v[4:5], v[16:17], -v[0:1]
	;; [unrolled: 1-line block ×3, first 2 shown]
	v_add_f64 v[58:59], v[170:171], v[58:59]
	v_fma_f64 v[170:171], v[192:193], s[18:19], -v[226:227]
	v_fma_f64 v[138:139], v[97:98], s[22:23], v[146:147]
	v_fma_f64 v[146:147], v[148:149], s[4:5], -v[234:235]
	v_add_f64 v[164:165], v[166:167], v[164:165]
	v_fma_f64 v[166:167], v[208:209], s[14:15], -v[222:223]
	v_add_f64 v[60:61], v[60:61], v[127:128]
	v_add_f64 v[99:100], v[107:108], v[99:100]
	;; [unrolled: 1-line block ×5, first 2 shown]
	v_fma_f64 v[10:11], v[97:98], s[6:7], v[105:106]
	v_fma_f64 v[107:108], v[158:159], s[6:7], v[162:163]
	v_add_f64 v[105:106], v[212:213], v[30:31]
	v_fma_f64 v[30:31], v[140:141], v[16:17], v[18:19]
	v_fma_f64 v[18:19], v[97:98], s[18:19], v[142:143]
	v_add_f64 v[142:143], v[200:201], v[186:187]
	v_fma_f64 v[97:98], v[97:98], s[14:15], v[154:155]
	v_mul_f64 v[154:155], v[12:13], s[46:47]
	v_fma_f64 v[24:25], v[148:149], s[12:13], -v[136:137]
	v_fma_f64 v[136:137], v[148:149], s[12:13], v[136:137]
	v_mul_f64 v[216:217], v[6:7], s[42:43]
	v_mul_f64 v[220:221], v[6:7], s[44:45]
	v_add_f64 v[58:59], v[170:171], v[58:59]
	v_add_f64 v[138:139], v[77:78], v[138:139]
	v_fma_f64 v[170:171], v[101:102], s[10:11], v[196:197]
	v_mul_f64 v[20:21], v[6:7], s[38:39]
	v_add_f64 v[140:141], v[166:167], v[164:165]
	v_mul_f64 v[164:165], v[14:15], s[40:41]
	v_mul_f64 v[14:15], v[14:15], s[34:35]
	v_add_f64 v[60:61], v[125:126], v[60:61]
	v_add_f64 v[0:1], v[0:1], v[52:53]
	;; [unrolled: 1-line block ×4, first 2 shown]
	v_fma_f64 v[10:11], v[101:102], s[14:15], v[109:110]
	v_fma_f64 v[109:110], v[121:122], s[22:23], -v[22:23]
	v_add_f64 v[105:106], v[111:112], v[105:106]
	v_add_f64 v[18:19], v[77:78], v[18:19]
	v_fma_f64 v[111:112], v[101:102], s[16:17], v[188:189]
	v_add_f64 v[142:143], v[146:147], v[142:143]
	v_fma_f64 v[146:147], v[101:102], s[22:23], v[152:153]
	v_add_f64 v[77:78], v[77:78], v[97:98]
	v_fma_f64 v[97:98], v[158:159], s[12:13], -v[56:57]
	v_add_f64 v[99:100], v[107:108], v[99:100]
	v_add_f64 v[103:104], v[144:145], v[103:104]
	v_fma_f64 v[144:145], v[148:149], s[22:23], v[160:161]
	v_add_f64 v[8:9], v[24:25], v[8:9]
	v_fma_f64 v[24:25], v[192:193], s[14:15], -v[26:27]
	v_fma_f64 v[26:27], v[192:193], s[14:15], v[26:27]
	v_fma_f64 v[230:231], v[208:209], s[10:11], -v[210:211]
	v_fma_f64 v[152:153], v[148:149], s[14:15], -v[164:165]
	v_fma_f64 v[125:126], v[148:149], s[14:15], v[164:165]
	v_fma_f64 v[232:233], v[208:209], s[18:19], -v[220:221]
	v_add_f64 v[0:1], v[0:1], v[54:55]
	v_fma_f64 v[166:167], v[208:209], s[22:23], -v[20:21]
	v_fma_f64 v[20:21], v[208:209], s[22:23], v[20:21]
	v_add_f64 v[4:5], v[10:11], v[4:5]
	v_fma_f64 v[10:11], v[121:122], s[22:23], v[22:23]
	v_fma_f64 v[22:23], v[101:102], s[12:13], v[174:175]
	v_add_f64 v[2:3], v[109:110], v[2:3]
	v_add_f64 v[18:19], v[111:112], v[18:19]
	v_fma_f64 v[101:102], v[121:122], s[14:15], v[202:203]
	v_fma_f64 v[109:110], v[192:193], s[12:13], -v[154:155]
	v_add_f64 v[111:112], v[170:171], v[138:139]
	v_fma_f64 v[138:139], v[121:122], s[4:5], v[214:215]
	v_add_f64 v[129:130], v[146:147], v[129:130]
	v_add_f64 v[146:147], v[28:29], -v[30:31]
	v_fma_f64 v[154:155], v[192:193], s[12:13], v[154:155]
	v_add_f64 v[99:100], v[144:145], v[99:100]
	v_add_f64 v[103:104], v[136:137], v[103:104]
	v_fma_f64 v[136:137], v[192:193], s[16:17], v[194:195]
	v_add_f64 v[8:9], v[24:25], v[8:9]
	v_add_f64 v[105:106], v[152:153], v[105:106]
	v_fma_f64 v[152:153], v[148:149], s[6:7], v[184:185]
	v_fma_f64 v[24:25], v[208:209], s[4:5], -v[216:217]
	v_add_f64 v[0:1], v[0:1], v[115:116]
	v_add_f64 v[16:17], v[230:231], v[206:207]
	;; [unrolled: 1-line block ×4, first 2 shown]
	v_fma_f64 v[10:11], v[158:159], s[12:13], v[56:57]
	v_add_f64 v[22:23], v[22:23], v[77:78]
	v_fma_f64 v[56:57], v[121:122], s[10:11], v[182:183]
	v_add_f64 v[2:3], v[97:98], v[2:3]
	v_add_f64 v[18:19], v[101:102], v[18:19]
	v_fma_f64 v[97:98], v[158:159], s[22:23], v[224:225]
	v_add_f64 v[101:102], v[109:110], v[142:143]
	;; [unrolled: 3-line block ×3, first 2 shown]
	v_fma_f64 v[138:139], v[158:159], s[10:11], v[180:181]
	v_fma_f64 v[77:78], v[148:149], s[18:19], -v[14:15]
	v_fma_f64 v[14:15], v[148:149], s[18:19], v[14:15]
	v_fma_f64 v[150:151], v[148:149], s[10:11], v[176:177]
	v_add_f64 v[121:122], v[32:33], v[52:53]
	v_mul_f64 v[127:128], v[146:147], s[36:37]
	v_mul_f64 v[142:143], v[146:147], s[38:39]
	v_add_f64 v[0:1], v[0:1], v[119:120]
	v_mul_f64 v[123:124], v[146:147], s[30:31]
	v_mul_f64 v[160:161], v[146:147], s[24:25]
	;; [unrolled: 1-line block ×3, first 2 shown]
	v_add_f64 v[99:100], v[136:137], v[99:100]
	v_add_f64 v[4:5], v[10:11], v[4:5]
	;; [unrolled: 1-line block ×4, first 2 shown]
	v_fma_f64 v[56:57], v[158:159], s[4:5], v[190:191]
	v_mul_f64 v[22:23], v[12:13], s[28:29]
	v_add_f64 v[18:19], v[97:98], v[18:19]
	v_mul_f64 v[12:13], v[12:13], s[24:25]
	v_fma_f64 v[103:104], v[208:209], s[10:11], v[210:211]
	v_add_f64 v[97:98], v[111:112], v[109:110]
	v_fma_f64 v[109:110], v[148:149], s[4:5], v[234:235]
	v_add_f64 v[129:130], v[138:139], v[129:130]
	;; [unrolled: 2-line block ×3, first 2 shown]
	v_add_f64 v[60:61], v[150:151], v[60:61]
	v_fma_f64 v[150:151], v[192:193], s[22:23], v[172:173]
	v_mul_f64 v[77:78], v[146:147], s[34:35]
	v_fma_f64 v[136:137], v[208:209], s[4:5], v[216:217]
	v_add_f64 v[0:1], v[0:1], v[95:96]
	v_add_f64 v[8:9], v[24:25], v[8:9]
	v_fma_f64 v[111:112], v[121:122], s[14:15], -v[127:128]
	v_fma_f64 v[138:139], v[121:122], s[22:23], -v[142:143]
	v_add_f64 v[24:25], v[232:233], v[218:219]
	v_add_f64 v[4:5], v[14:15], v[4:5]
	v_mul_f64 v[14:15], v[6:7], s[30:31]
	v_fma_f64 v[107:108], v[121:122], s[12:13], -v[123:124]
	v_add_f64 v[10:11], v[56:57], v[10:11]
	v_fma_f64 v[156:157], v[192:193], s[6:7], -v[22:23]
	v_mul_f64 v[56:57], v[6:7], s[28:29]
	v_mul_f64 v[6:7], v[6:7], s[26:27]
	v_fma_f64 v[22:23], v[192:193], s[6:7], v[22:23]
	v_add_f64 v[97:98], v[125:126], v[97:98]
	v_add_f64 v[18:19], v[109:110], v[18:19]
	v_fma_f64 v[109:110], v[192:193], s[10:11], -v[12:13]
	v_fma_f64 v[12:13], v[192:193], s[10:11], v[12:13]
	v_add_f64 v[129:130], v[152:153], v[129:130]
	v_fma_f64 v[152:153], v[192:193], s[4:5], v[198:199]
	v_mul_f64 v[125:126], v[146:147], s[28:29]
	v_add_f64 v[60:61], v[150:151], v[60:61]
	v_fma_f64 v[158:159], v[121:122], s[18:19], -v[77:78]
	v_add_f64 v[0:1], v[0:1], v[85:86]
	v_fma_f64 v[77:78], v[121:122], s[18:19], v[77:78]
	v_add_f64 v[99:100], v[103:104], v[99:100]
	v_add_f64 v[26:27], v[136:137], v[26:27]
	v_fma_f64 v[103:104], v[121:122], s[14:15], v[127:128]
	v_add_f64 v[16:17], v[111:112], v[16:17]
	v_add_f64 v[8:9], v[138:139], v[8:9]
	;; [unrolled: 1-line block ×4, first 2 shown]
	v_fma_f64 v[148:149], v[192:193], s[18:19], v[226:227]
	v_add_f64 v[105:106], v[156:157], v[105:106]
	v_fma_f64 v[144:145], v[208:209], s[6:7], -v[56:57]
	v_fma_f64 v[156:157], v[208:209], s[12:13], -v[14:15]
	v_add_f64 v[22:23], v[22:23], v[97:98]
	v_add_f64 v[18:19], v[154:155], v[18:19]
	;; [unrolled: 1-line block ×4, first 2 shown]
	v_fma_f64 v[12:13], v[208:209], s[16:17], -v[6:7]
	v_fma_f64 v[6:7], v[208:209], s[16:17], v[6:7]
	v_mul_f64 v[109:110], v[146:147], s[20:21]
	v_fma_f64 v[56:57], v[208:209], s[6:7], v[56:57]
	v_fma_f64 v[14:15], v[208:209], s[12:13], v[14:15]
	v_add_f64 v[97:98], v[152:153], v[129:130]
	v_fma_f64 v[129:130], v[208:209], s[18:19], v[220:221]
	v_fma_f64 v[146:147], v[208:209], s[14:15], v[222:223]
	v_fma_f64 v[150:151], v[121:122], s[6:7], -v[125:126]
	v_add_f64 v[0:1], v[0:1], v[89:90]
	v_add_f64 v[107:108], v[158:159], v[140:141]
	v_cndmask_b32_e64 v111, 0, 0x908, s1
	v_add_f64 v[10:11], v[148:149], v[10:11]
	v_fma_f64 v[148:149], v[121:122], s[16:17], -v[162:163]
	v_add_f64 v[101:102], v[144:145], v[101:102]
	v_add_f64 v[105:106], v[156:157], v[105:106]
	v_fma_f64 v[144:145], v[121:122], s[10:11], -v[160:161]
	v_add_f64 v[2:3], v[12:13], v[2:3]
	v_add_f64 v[4:5], v[6:7], v[4:5]
	v_fma_f64 v[6:7], v[121:122], s[4:5], -v[109:110]
	v_fma_f64 v[12:13], v[121:122], s[4:5], v[109:110]
	v_add_f64 v[18:19], v[56:57], v[18:19]
	v_add_f64 v[14:15], v[14:15], v[22:23]
	v_fma_f64 v[22:23], v[121:122], s[10:11], v[160:161]
	v_fma_f64 v[56:57], v[121:122], s[16:17], v[162:163]
	v_add_f64 v[60:61], v[129:130], v[60:61]
	v_add_f64 v[97:98], v[146:147], v[97:98]
	v_fma_f64 v[109:110], v[121:122], s[12:13], v[123:124]
	v_fma_f64 v[123:124], v[121:122], s[22:23], v[142:143]
	v_add_f64 v[58:59], v[150:151], v[58:59]
	v_add_f64 v[0:1], v[0:1], v[93:94]
	;; [unrolled: 1-line block ×3, first 2 shown]
	v_fma_f64 v[20:21], v[121:122], s[6:7], v[125:126]
	v_add_f64 v[105:106], v[148:149], v[105:106]
	v_add_f64 v[101:102], v[144:145], v[101:102]
	;; [unrolled: 1-line block ×10, first 2 shown]
	ds_read_b64 v[97:98], v67
	s_waitcnt lgkmcnt(0)
	s_barrier
	v_add_f64 v[56:57], v[20:21], v[10:11]
	v_add_nc_u32_e32 v10, 0, v111
	v_lshlrev_b32_e32 v11, 3, v135
	buffer_gl0_inv
	v_add3_u32 v99, v10, v11, v134
	ds_write2_b64 v99, v[16:17], v[8:9] offset0:34 offset1:51
	ds_write2_b64 v99, v[24:25], v[107:108] offset0:68 offset1:85
	ds_write2_b64 v99, v[0:1], v[58:59] offset1:17
	ds_write2_b64 v99, v[101:102], v[105:106] offset0:102 offset1:119
	ds_write2_b64 v99, v[2:3], v[4:5] offset0:136 offset1:153
	;; [unrolled: 1-line block ×5, first 2 shown]
	ds_write_b64 v99, v[56:57] offset:2176
	s_waitcnt lgkmcnt(0)
	s_barrier
	buffer_gl0_inv
	ds_read_b64 v[60:61], v67
	ds_read_b64 v[77:78], v131 offset:4216
	ds_read2_b64 v[12:15], v133 offset0:110 offset1:161
	ds_read2_b64 v[0:3], v131 offset0:34 offset1:68
	;; [unrolled: 1-line block ×7, first 2 shown]
                                        ; implicit-def: $vgpr58_vgpr59
	s_and_saveexec_b32 s1, s0
	s_cbranch_execz .LBB0_12
; %bb.11:
	ds_read_b64 v[56:57], v131 offset:2176
	ds_read_b64 v[58:59], v131 offset:4488
.LBB0_12:
	s_or_b32 exec_lo, exec_lo, s1
	v_add_f64 v[110:111], v[79:80], v[63:64]
	v_add_f64 v[79:80], v[97:98], v[79:80]
	v_add_f64 v[32:33], v[32:33], -v[52:53]
	v_add_f64 v[91:92], v[91:92], -v[93:94]
	;; [unrolled: 1-line block ×8, first 2 shown]
	s_waitcnt lgkmcnt(0)
	s_barrier
	buffer_gl0_inv
	v_add_f64 v[79:80], v[79:80], v[81:82]
	v_add_f64 v[81:82], v[81:82], v[65:66]
	v_mul_f64 v[93:94], v[91:92], s[40:41]
	v_mul_f64 v[95:96], v[91:92], s[46:47]
	;; [unrolled: 1-line block ×15, first 2 shown]
	v_add_f64 v[52:53], v[79:80], v[73:74]
	v_mul_f64 v[79:80], v[83:84], s[54:55]
	v_fma_f64 v[112:113], v[110:111], s[14:15], v[93:94]
	v_fma_f64 v[93:94], v[110:111], s[14:15], -v[93:94]
	v_fma_f64 v[114:115], v[110:111], s[12:13], v[95:96]
	v_fma_f64 v[95:96], v[110:111], s[12:13], -v[95:96]
	;; [unrolled: 2-line block ×8, first 2 shown]
	v_mul_f64 v[110:111], v[87:88], s[46:47]
	v_mul_f64 v[87:88], v[87:88], s[36:37]
	v_fma_f64 v[146:147], v[81:82], s[4:5], v[128:129]
	v_fma_f64 v[128:129], v[81:82], s[4:5], -v[128:129]
	v_add_f64 v[52:53], v[52:53], v[75:76]
	v_fma_f64 v[148:149], v[81:82], s[18:19], v[134:135]
	v_fma_f64 v[134:135], v[81:82], s[18:19], -v[134:135]
	v_fma_f64 v[150:151], v[81:82], s[6:7], v[136:137]
	v_fma_f64 v[136:137], v[81:82], s[6:7], -v[136:137]
	;; [unrolled: 2-line block ×5, first 2 shown]
	v_add_f64 v[93:94], v[97:98], v[93:94]
	v_add_f64 v[95:96], v[97:98], v[95:96]
	;; [unrolled: 1-line block ×7, first 2 shown]
	v_fma_f64 v[144:145], v[81:82], s[12:13], v[110:111]
	v_fma_f64 v[110:111], v[81:82], s[12:13], -v[110:111]
	v_fma_f64 v[158:159], v[81:82], s[14:15], v[87:88]
	v_fma_f64 v[81:82], v[81:82], s[14:15], -v[87:88]
	v_add_f64 v[52:53], v[52:53], v[46:47]
	v_add_f64 v[87:88], v[97:98], v[112:113]
	;; [unrolled: 1-line block ×10, first 2 shown]
	v_mul_f64 v[126:127], v[83:84], s[40:41]
	v_add_f64 v[46:47], v[46:47], v[42:43]
	v_add_f64 v[95:96], v[128:129], v[95:96]
	v_mul_f64 v[128:129], v[83:84], s[42:43]
	v_add_f64 v[100:101], v[134:135], v[100:101]
	v_add_f64 v[102:103], v[136:137], v[102:103]
	;; [unrolled: 1-line block ×15, first 2 shown]
	v_mul_f64 v[122:123], v[83:84], s[48:49]
	v_mul_f64 v[124:125], v[83:84], s[30:31]
	v_add_f64 v[81:82], v[81:82], v[91:92]
	v_add_f64 v[38:39], v[38:39], v[34:35]
	;; [unrolled: 1-line block ×9, first 2 shown]
	v_mul_f64 v[73:74], v[83:84], s[34:35]
	v_mul_f64 v[83:84], v[83:84], s[38:39]
	v_add_f64 v[34:35], v[40:41], v[34:35]
	v_fma_f64 v[134:135], v[52:53], s[10:11], v[54:55]
	v_fma_f64 v[54:55], v[52:53], s[10:11], -v[54:55]
	v_fma_f64 v[136:137], v[52:53], s[18:19], v[73:74]
	v_fma_f64 v[73:74], v[52:53], s[18:19], -v[73:74]
	;; [unrolled: 2-line block ×6, first 2 shown]
	v_fma_f64 v[146:147], v[52:53], s[4:5], v[128:129]
	v_fma_f64 v[148:149], v[52:53], s[22:23], v[83:84]
	v_fma_f64 v[128:129], v[52:53], s[4:5], -v[128:129]
	v_fma_f64 v[52:53], v[52:53], s[22:23], -v[83:84]
	v_add_f64 v[40:41], v[75:76], v[48:49]
	v_mul_f64 v[75:76], v[50:51], s[42:43]
	v_add_f64 v[34:35], v[34:35], v[42:43]
	v_add_f64 v[83:84], v[134:135], v[87:88]
	v_add_f64 v[54:55], v[54:55], v[93:94]
	v_add_f64 v[87:88], v[136:137], v[97:98]
	v_add_f64 v[73:74], v[73:74], v[95:96]
	v_add_f64 v[91:92], v[138:139], v[110:111]
	v_add_f64 v[79:80], v[79:80], v[100:101]
	v_add_f64 v[93:94], v[140:141], v[112:113]
	v_add_f64 v[95:96], v[122:123], v[102:103]
	v_add_f64 v[97:98], v[142:143], v[114:115]
	v_add_f64 v[100:101], v[124:125], v[104:105]
	v_add_f64 v[102:103], v[144:145], v[116:117]
	v_add_f64 v[104:105], v[126:127], v[106:107]
	v_add_f64 v[106:107], v[146:147], v[118:119]
	v_add_f64 v[110:111], v[148:149], v[120:121]
	v_mul_f64 v[112:113], v[50:51], s[28:29]
	v_mul_f64 v[114:115], v[50:51], s[48:49]
	;; [unrolled: 1-line block ×7, first 2 shown]
	v_add_f64 v[108:109], v[128:129], v[108:109]
	v_fma_f64 v[124:125], v[40:41], s[4:5], v[75:76]
	v_fma_f64 v[75:76], v[40:41], s[4:5], -v[75:76]
	v_mul_f64 v[42:43], v[85:86], s[26:27]
	v_add_f64 v[34:35], v[34:35], v[48:49]
	v_mul_f64 v[48:49], v[89:90], s[34:35]
	v_fma_f64 v[126:127], v[40:41], s[6:7], v[112:113]
	v_fma_f64 v[112:113], v[40:41], s[6:7], -v[112:113]
	v_fma_f64 v[128:129], v[40:41], s[16:17], v[114:115]
	v_fma_f64 v[114:115], v[40:41], s[16:17], -v[114:115]
	;; [unrolled: 2-line block ×7, first 2 shown]
	v_add_f64 v[50:51], v[52:53], v[81:82]
	v_add_f64 v[52:53], v[124:125], v[83:84]
	;; [unrolled: 1-line block ×4, first 2 shown]
	v_mul_f64 v[71:72], v[44:45], s[24:25]
	v_add_f64 v[75:76], v[126:127], v[87:88]
	v_add_f64 v[73:74], v[112:113], v[73:74]
	;; [unrolled: 1-line block ×13, first 2 shown]
	v_mul_f64 v[106:107], v[85:86], s[52:53]
	v_mul_f64 v[108:109], v[85:86], s[30:31]
	;; [unrolled: 1-line block ×7, first 2 shown]
	v_fma_f64 v[118:119], v[46:47], s[16:17], v[42:43]
	v_fma_f64 v[42:43], v[46:47], s[16:17], -v[42:43]
	v_add_f64 v[40:41], v[40:41], v[50:51]
	v_add_f64 v[34:35], v[34:35], v[65:66]
	v_mul_f64 v[65:66], v[32:33], s[34:35]
	v_fma_f64 v[120:121], v[46:47], s[22:23], v[106:107]
	v_fma_f64 v[106:107], v[46:47], s[22:23], -v[106:107]
	v_fma_f64 v[122:123], v[46:47], s[12:13], v[108:109]
	v_fma_f64 v[108:109], v[46:47], s[12:13], -v[108:109]
	;; [unrolled: 2-line block ×7, first 2 shown]
	v_add_f64 v[50:51], v[118:119], v[52:53]
	v_add_f64 v[42:43], v[42:43], v[54:55]
	;; [unrolled: 1-line block ×15, first 2 shown]
	v_mul_f64 v[100:101], v[89:90], s[48:49]
	v_mul_f64 v[102:103], v[89:90], s[40:41]
	;; [unrolled: 1-line block ×7, first 2 shown]
	v_fma_f64 v[112:113], v[38:39], s[18:19], v[48:49]
	v_fma_f64 v[48:49], v[38:39], s[18:19], -v[48:49]
	v_add_f64 v[40:41], v[46:47], v[40:41]
	v_fma_f64 v[114:115], v[38:39], s[16:17], v[100:101]
	v_fma_f64 v[100:101], v[38:39], s[16:17], -v[100:101]
	v_fma_f64 v[116:117], v[38:39], s[14:15], v[102:103]
	v_fma_f64 v[102:103], v[38:39], s[14:15], -v[102:103]
	;; [unrolled: 2-line block ×7, first 2 shown]
	v_add_f64 v[46:47], v[112:113], v[50:51]
	v_add_f64 v[42:43], v[48:49], v[42:43]
	;; [unrolled: 1-line block ×15, first 2 shown]
	v_mul_f64 v[93:94], v[44:45], s[38:39]
	v_mul_f64 v[95:96], v[44:45], s[42:43]
	;; [unrolled: 1-line block ×7, first 2 shown]
	v_fma_f64 v[108:109], v[36:37], s[10:11], v[71:72]
	v_fma_f64 v[71:72], v[36:37], s[10:11], -v[71:72]
	v_add_f64 v[38:39], v[38:39], v[40:41]
	v_fma_f64 v[106:107], v[36:37], s[22:23], v[93:94]
	v_fma_f64 v[93:94], v[36:37], s[22:23], -v[93:94]
	v_fma_f64 v[110:111], v[36:37], s[4:5], v[95:96]
	v_fma_f64 v[95:96], v[36:37], s[4:5], -v[95:96]
	v_fma_f64 v[112:113], v[36:37], s[18:19], v[97:98]
	v_fma_f64 v[97:98], v[36:37], s[18:19], -v[97:98]
	v_fma_f64 v[114:115], v[36:37], s[14:15], v[100:101]
	v_fma_f64 v[100:101], v[36:37], s[14:15], -v[100:101]
	v_fma_f64 v[116:117], v[36:37], s[6:7], v[102:103]
	v_fma_f64 v[102:103], v[36:37], s[6:7], -v[102:103]
	v_fma_f64 v[118:119], v[36:37], s[12:13], v[104:105]
	v_fma_f64 v[104:105], v[36:37], s[12:13], -v[104:105]
	v_fma_f64 v[120:121], v[36:37], s[16:17], v[44:45]
	v_fma_f64 v[36:37], v[36:37], s[16:17], -v[44:45]
	v_add_f64 v[44:45], v[71:72], v[50:51]
	v_add_f64 v[30:31], v[106:107], v[46:47]
	;; [unrolled: 1-line block ×11, first 2 shown]
	v_mul_f64 v[75:76], v[32:33], s[36:37]
	v_add_f64 v[79:80], v[102:103], v[85:86]
	v_mul_f64 v[81:82], v[32:33], s[38:39]
	v_add_f64 v[83:84], v[118:119], v[87:88]
	;; [unrolled: 2-line block ×3, first 2 shown]
	v_mul_f64 v[89:90], v[32:33], s[24:25]
	v_mul_f64 v[93:94], v[32:33], s[26:27]
	v_add_f64 v[36:37], v[36:37], v[38:39]
	v_mul_f64 v[38:39], v[32:33], s[20:21]
	v_mul_f64 v[32:33], v[32:33], s[28:29]
	v_fma_f64 v[102:103], v[28:29], s[18:19], v[65:66]
	v_add_f64 v[91:92], v[120:121], v[91:92]
	v_fma_f64 v[65:66], v[28:29], s[18:19], -v[65:66]
	v_fma_f64 v[95:96], v[28:29], s[14:15], v[75:76]
	v_fma_f64 v[75:76], v[28:29], s[14:15], -v[75:76]
	v_fma_f64 v[97:98], v[28:29], s[22:23], v[81:82]
	;; [unrolled: 2-line block ×4, first 2 shown]
	v_fma_f64 v[106:107], v[28:29], s[16:17], v[93:94]
	v_fma_f64 v[89:90], v[28:29], s[10:11], -v[89:90]
	v_fma_f64 v[108:109], v[28:29], s[4:5], v[38:39]
	v_fma_f64 v[110:111], v[28:29], s[6:7], v[32:33]
	v_fma_f64 v[38:39], v[28:29], s[4:5], -v[38:39]
	v_fma_f64 v[93:94], v[28:29], s[16:17], -v[93:94]
	;; [unrolled: 1-line block ×3, first 2 shown]
	v_add_f64 v[32:33], v[34:35], v[63:64]
	v_add_f64 v[71:72], v[65:66], v[71:72]
	;; [unrolled: 1-line block ×17, first 2 shown]
	ds_write2_b64 v99, v[32:33], v[30:31] offset1:17
	ds_write2_b64 v99, v[34:35], v[44:45] offset0:34 offset1:51
	ds_write2_b64 v99, v[46:47], v[52:53] offset0:68 offset1:85
	;; [unrolled: 1-line block ×7, first 2 shown]
	ds_write_b64 v99, v[64:65] offset:2176
	s_waitcnt lgkmcnt(0)
	s_barrier
	buffer_gl0_inv
	ds_read2_b64 v[36:39], v133 offset0:110 offset1:161
	ds_read2_b64 v[28:31], v131 offset0:34 offset1:68
	;; [unrolled: 1-line block ×7, first 2 shown]
	ds_read_b64 v[74:75], v67
	ds_read_b64 v[79:80], v131 offset:4216
                                        ; implicit-def: $vgpr66_vgpr67
	s_and_saveexec_b32 s1, s0
	s_cbranch_execz .LBB0_14
; %bb.13:
	ds_read_b64 v[64:65], v131 offset:2176
	ds_read_b64 v[66:67], v131 offset:4488
	v_add_nc_u32_e32 v62, 0x110, v70
.LBB0_14:
	s_or_b32 exec_lo, exec_lo, s1
	s_and_saveexec_b32 s1, vcc_lo
	s_cbranch_execz .LBB0_17
; %bb.15:
	v_mov_b32_e32 v73, 0
	v_add_nc_u32_e32 v72, 0xee, v70
	v_add_nc_u32_e32 v113, 0xcc, v70
	;; [unrolled: 1-line block ×4, first 2 shown]
	v_mov_b32_e32 v114, v73
	v_lshlrev_b64 v[81:82], 4, v[72:73]
	v_mov_b32_e32 v84, v73
	v_mov_b32_e32 v92, v73
	v_lshlrev_b64 v[85:86], 4, v[113:114]
	v_add_co_u32 v63, vcc_lo, s8, v81
	v_add_co_ci_u32_e32 v71, vcc_lo, s9, v82, vcc_lo
	v_add_co_u32 v76, vcc_lo, s8, v85
	v_add_co_ci_u32_e32 v86, vcc_lo, s9, v86, vcc_lo
	v_add_co_u32 v81, vcc_lo, 0x1000, v63
	v_lshlrev_b64 v[89:90], 4, v[83:84]
	v_add_co_ci_u32_e32 v82, vcc_lo, 0, v71, vcc_lo
	v_add_co_u32 v85, vcc_lo, 0x1000, v76
	v_add_co_ci_u32_e32 v86, vcc_lo, 0, v86, vcc_lo
	v_add_co_u32 v63, vcc_lo, s8, v89
	v_mov_b32_e32 v71, v73
	v_add_co_ci_u32_e32 v76, vcc_lo, s9, v90, vcc_lo
	v_lshlrev_b64 v[89:90], 4, v[91:92]
	v_add_co_u32 v91, vcc_lo, 0x1000, v63
	v_lshlrev_b64 v[70:71], 4, v[70:71]
	v_add_co_ci_u32_e32 v92, vcc_lo, 0, v76, vcc_lo
	v_add_co_u32 v63, vcc_lo, s8, v89
	v_add_co_ci_u32_e32 v76, vcc_lo, s9, v90, vcc_lo
	v_add_co_u32 v89, vcc_lo, s8, v70
	;; [unrolled: 2-line block ×4, first 2 shown]
	v_add_co_ci_u32_e32 v110, vcc_lo, 0, v90, vcc_lo
	s_clause 0x7
	global_load_dwordx4 v[81:84], v[81:82], off offset:256
	global_load_dwordx4 v[85:88], v[85:86], off offset:256
	;; [unrolled: 1-line block ×8, first 2 shown]
	v_mul_hi_u32 v76, 0xe2c4a689, v72
	v_mul_hi_u32 v63, 0xe2c4a689, v113
	v_add_co_u32 v133, vcc_lo, s2, v68
	v_add_co_ci_u32_e32 v134, vcc_lo, s3, v69, vcc_lo
	v_add_co_u32 v68, vcc_lo, v133, v70
	v_lshrrev_b32_e32 v76, 8, v76
	v_lshrrev_b32_e32 v63, 8, v63
	v_add_co_ci_u32_e32 v69, vcc_lo, v134, v71, vcc_lo
	v_add_co_u32 v70, vcc_lo, 0x1000, v68
	v_mad_u32_u24 v72, 0x121, v76, v72
	v_mad_u32_u24 v113, 0x121, v63, v113
	v_add_co_ci_u32_e32 v71, vcc_lo, 0, v69, vcc_lo
	v_add_co_u32 v131, vcc_lo, 0x1800, v68
	v_add_co_ci_u32_e32 v132, vcc_lo, 0, v69, vcc_lo
	s_waitcnt vmcnt(5)
	v_mul_f64 v[119:120], v[24:25], v[91:92]
	s_waitcnt lgkmcnt(2)
	v_mul_f64 v[91:92], v[52:53], v[91:92]
	s_waitcnt vmcnt(4)
	v_mul_f64 v[121:122], v[22:23], v[95:96]
	v_mul_f64 v[115:116], v[77:78], v[83:84]
	s_waitcnt lgkmcnt(0)
	v_mul_f64 v[83:84], v[79:80], v[83:84]
	v_mul_f64 v[117:118], v[26:27], v[87:88]
	;; [unrolled: 1-line block ×3, first 2 shown]
	s_waitcnt vmcnt(2)
	v_mul_f64 v[125:126], v[18:19], v[103:104]
	s_waitcnt vmcnt(0)
	v_mul_f64 v[129:130], v[14:15], v[111:112]
	v_mul_f64 v[111:112], v[38:39], v[111:112]
	v_mul_f64 v[127:128], v[16:17], v[107:108]
	v_mul_f64 v[107:108], v[44:45], v[107:108]
	v_mul_f64 v[103:104], v[46:47], v[103:104]
	v_mul_f64 v[123:124], v[20:21], v[99:100]
	v_mul_f64 v[99:100], v[48:49], v[99:100]
	v_mul_f64 v[95:96], v[50:51], v[95:96]
	v_fma_f64 v[52:53], v[52:53], v[89:90], v[119:120]
	v_fma_f64 v[50:51], v[50:51], v[93:94], v[121:122]
	;; [unrolled: 1-line block ×3, first 2 shown]
	v_fma_f64 v[76:77], v[77:78], v[81:82], -v[83:84]
	v_fma_f64 v[54:55], v[54:55], v[85:86], v[117:118]
	v_fma_f64 v[26:27], v[26:27], v[85:86], -v[87:88]
	v_fma_f64 v[81:82], v[24:25], v[89:90], -v[91:92]
	v_fma_f64 v[83:84], v[46:47], v[101:102], v[125:126]
	v_fma_f64 v[38:39], v[38:39], v[109:110], v[129:130]
	v_fma_f64 v[85:86], v[14:15], v[109:110], -v[111:112]
	v_fma_f64 v[44:45], v[44:45], v[105:106], v[127:128]
	v_fma_f64 v[87:88], v[16:17], v[105:106], -v[107:108]
	v_fma_f64 v[89:90], v[18:19], v[101:102], -v[103:104]
	v_fma_f64 v[48:49], v[48:49], v[97:98], v[123:124]
	v_fma_f64 v[91:92], v[20:21], v[97:98], -v[99:100]
	v_fma_f64 v[93:94], v[22:23], v[93:94], -v[95:96]
	v_lshlrev_b64 v[98:99], 4, v[113:114]
	v_add_co_u32 v96, vcc_lo, 0x800, v68
	v_lshlrev_b64 v[100:101], 4, v[72:73]
	v_add_co_ci_u32_e32 v97, vcc_lo, 0, v69, vcc_lo
	v_add_f64 v[24:25], v[40:41], -v[52:53]
	v_add_f64 v[46:47], v[34:35], -v[50:51]
	;; [unrolled: 1-line block ×16, first 2 shown]
	v_add_co_u32 v26, vcc_lo, v133, v98
	v_add_co_ci_u32_e32 v27, vcc_lo, v134, v99, vcc_lo
	v_add_co_u32 v98, vcc_lo, v133, v100
	v_add_co_ci_u32_e32 v99, vcc_lo, v134, v101, vcc_lo
	v_fma_f64 v[34:35], v[34:35], 2.0, -v[46:47]
	v_fma_f64 v[38:39], v[36:37], 2.0, -v[16:17]
	;; [unrolled: 1-line block ×16, first 2 shown]
	v_add_co_u32 v0, vcc_lo, 0x1000, v26
	v_add_co_ci_u32_e32 v1, vcc_lo, 0, v27, vcc_lo
	v_add_co_u32 v2, vcc_lo, 0x1000, v98
	v_add_co_ci_u32_e32 v3, vcc_lo, 0, v99, vcc_lo
	global_store_dwordx4 v[70:71], v[80:83], off offset:528
	global_store_dwordx4 v[70:71], v[76:79], off offset:1072
	;; [unrolled: 1-line block ×7, first 2 shown]
	global_store_dwordx4 v[68:69], v[92:95], off
	global_store_dwordx4 v[68:69], v[88:91], off offset:544
	global_store_dwordx4 v[68:69], v[28:31], off offset:1088
	;; [unrolled: 1-line block ×5, first 2 shown]
	global_store_dwordx4 v[26:27], v[10:13], off
	global_store_dwordx4 v[98:99], v[36:39], off
	global_store_dwordx4 v[2:3], v[14:17], off offset:528
	s_and_b32 exec_lo, exec_lo, s0
	s_cbranch_execz .LBB0_17
; %bb.16:
	v_mov_b32_e32 v63, v73
	v_lshlrev_b64 v[0:1], 4, v[62:63]
	v_add_co_u32 v0, vcc_lo, s8, v0
	v_add_co_ci_u32_e32 v1, vcc_lo, s9, v1, vcc_lo
	v_add_co_u32 v0, vcc_lo, 0x1000, v0
	v_add_co_ci_u32_e32 v1, vcc_lo, 0, v1, vcc_lo
	;; [unrolled: 2-line block ×3, first 2 shown]
	global_load_dwordx4 v[0:3], v[0:1], off offset:256
	s_waitcnt vmcnt(0)
	v_mul_f64 v[4:5], v[66:67], v[2:3]
	v_mul_f64 v[2:3], v[58:59], v[2:3]
	v_fma_f64 v[4:5], v[58:59], v[0:1], -v[4:5]
	v_fma_f64 v[2:3], v[66:67], v[0:1], v[2:3]
	v_add_f64 v[0:1], v[56:57], -v[4:5]
	v_add_f64 v[2:3], v[64:65], -v[2:3]
	v_fma_f64 v[4:5], v[56:57], 2.0, -v[0:1]
	v_fma_f64 v[6:7], v[64:65], 2.0, -v[2:3]
	global_store_dwordx4 v[70:71], v[4:7], off offset:256
	global_store_dwordx4 v[8:9], v[0:3], off offset:784
.LBB0_17:
	s_endpgm
	.section	.rodata,"a",@progbits
	.p2align	6, 0x0
	.amdhsa_kernel fft_rtc_fwd_len578_factors_17_17_2_wgs_238_tpt_34_halfLds_dp_ip_CI_unitstride_sbrr_dirReg
		.amdhsa_group_segment_fixed_size 0
		.amdhsa_private_segment_fixed_size 0
		.amdhsa_kernarg_size 88
		.amdhsa_user_sgpr_count 6
		.amdhsa_user_sgpr_private_segment_buffer 1
		.amdhsa_user_sgpr_dispatch_ptr 0
		.amdhsa_user_sgpr_queue_ptr 0
		.amdhsa_user_sgpr_kernarg_segment_ptr 1
		.amdhsa_user_sgpr_dispatch_id 0
		.amdhsa_user_sgpr_flat_scratch_init 0
		.amdhsa_user_sgpr_private_segment_size 0
		.amdhsa_wavefront_size32 1
		.amdhsa_uses_dynamic_stack 0
		.amdhsa_system_sgpr_private_segment_wavefront_offset 0
		.amdhsa_system_sgpr_workgroup_id_x 1
		.amdhsa_system_sgpr_workgroup_id_y 0
		.amdhsa_system_sgpr_workgroup_id_z 0
		.amdhsa_system_sgpr_workgroup_info 0
		.amdhsa_system_vgpr_workitem_id 0
		.amdhsa_next_free_vgpr 250
		.amdhsa_next_free_sgpr 56
		.amdhsa_reserve_vcc 1
		.amdhsa_reserve_flat_scratch 0
		.amdhsa_float_round_mode_32 0
		.amdhsa_float_round_mode_16_64 0
		.amdhsa_float_denorm_mode_32 3
		.amdhsa_float_denorm_mode_16_64 3
		.amdhsa_dx10_clamp 1
		.amdhsa_ieee_mode 1
		.amdhsa_fp16_overflow 0
		.amdhsa_workgroup_processor_mode 1
		.amdhsa_memory_ordered 1
		.amdhsa_forward_progress 0
		.amdhsa_shared_vgpr_count 0
		.amdhsa_exception_fp_ieee_invalid_op 0
		.amdhsa_exception_fp_denorm_src 0
		.amdhsa_exception_fp_ieee_div_zero 0
		.amdhsa_exception_fp_ieee_overflow 0
		.amdhsa_exception_fp_ieee_underflow 0
		.amdhsa_exception_fp_ieee_inexact 0
		.amdhsa_exception_int_div_zero 0
	.end_amdhsa_kernel
	.text
.Lfunc_end0:
	.size	fft_rtc_fwd_len578_factors_17_17_2_wgs_238_tpt_34_halfLds_dp_ip_CI_unitstride_sbrr_dirReg, .Lfunc_end0-fft_rtc_fwd_len578_factors_17_17_2_wgs_238_tpt_34_halfLds_dp_ip_CI_unitstride_sbrr_dirReg
                                        ; -- End function
	.section	.AMDGPU.csdata,"",@progbits
; Kernel info:
; codeLenInByte = 16040
; NumSgprs: 58
; NumVgprs: 250
; ScratchSize: 0
; MemoryBound: 1
; FloatMode: 240
; IeeeMode: 1
; LDSByteSize: 0 bytes/workgroup (compile time only)
; SGPRBlocks: 7
; VGPRBlocks: 31
; NumSGPRsForWavesPerEU: 58
; NumVGPRsForWavesPerEU: 250
; Occupancy: 4
; WaveLimiterHint : 1
; COMPUTE_PGM_RSRC2:SCRATCH_EN: 0
; COMPUTE_PGM_RSRC2:USER_SGPR: 6
; COMPUTE_PGM_RSRC2:TRAP_HANDLER: 0
; COMPUTE_PGM_RSRC2:TGID_X_EN: 1
; COMPUTE_PGM_RSRC2:TGID_Y_EN: 0
; COMPUTE_PGM_RSRC2:TGID_Z_EN: 0
; COMPUTE_PGM_RSRC2:TIDIG_COMP_CNT: 0
	.text
	.p2alignl 6, 3214868480
	.fill 48, 4, 3214868480
	.type	__hip_cuid_d4d34b4eab2604a1,@object ; @__hip_cuid_d4d34b4eab2604a1
	.section	.bss,"aw",@nobits
	.globl	__hip_cuid_d4d34b4eab2604a1
__hip_cuid_d4d34b4eab2604a1:
	.byte	0                               ; 0x0
	.size	__hip_cuid_d4d34b4eab2604a1, 1

	.ident	"AMD clang version 19.0.0git (https://github.com/RadeonOpenCompute/llvm-project roc-6.4.0 25133 c7fe45cf4b819c5991fe208aaa96edf142730f1d)"
	.section	".note.GNU-stack","",@progbits
	.addrsig
	.addrsig_sym __hip_cuid_d4d34b4eab2604a1
	.amdgpu_metadata
---
amdhsa.kernels:
  - .args:
      - .actual_access:  read_only
        .address_space:  global
        .offset:         0
        .size:           8
        .value_kind:     global_buffer
      - .offset:         8
        .size:           8
        .value_kind:     by_value
      - .actual_access:  read_only
        .address_space:  global
        .offset:         16
        .size:           8
        .value_kind:     global_buffer
      - .actual_access:  read_only
        .address_space:  global
        .offset:         24
        .size:           8
        .value_kind:     global_buffer
      - .offset:         32
        .size:           8
        .value_kind:     by_value
      - .actual_access:  read_only
        .address_space:  global
        .offset:         40
        .size:           8
        .value_kind:     global_buffer
      - .actual_access:  read_only
        .address_space:  global
        .offset:         48
        .size:           8
        .value_kind:     global_buffer
      - .offset:         56
        .size:           4
        .value_kind:     by_value
      - .actual_access:  read_only
        .address_space:  global
        .offset:         64
        .size:           8
        .value_kind:     global_buffer
      - .actual_access:  read_only
        .address_space:  global
        .offset:         72
        .size:           8
        .value_kind:     global_buffer
      - .address_space:  global
        .offset:         80
        .size:           8
        .value_kind:     global_buffer
    .group_segment_fixed_size: 0
    .kernarg_segment_align: 8
    .kernarg_segment_size: 88
    .language:       OpenCL C
    .language_version:
      - 2
      - 0
    .max_flat_workgroup_size: 238
    .name:           fft_rtc_fwd_len578_factors_17_17_2_wgs_238_tpt_34_halfLds_dp_ip_CI_unitstride_sbrr_dirReg
    .private_segment_fixed_size: 0
    .sgpr_count:     58
    .sgpr_spill_count: 0
    .symbol:         fft_rtc_fwd_len578_factors_17_17_2_wgs_238_tpt_34_halfLds_dp_ip_CI_unitstride_sbrr_dirReg.kd
    .uniform_work_group_size: 1
    .uses_dynamic_stack: false
    .vgpr_count:     250
    .vgpr_spill_count: 0
    .wavefront_size: 32
    .workgroup_processor_mode: 1
amdhsa.target:   amdgcn-amd-amdhsa--gfx1030
amdhsa.version:
  - 1
  - 2
...

	.end_amdgpu_metadata
